;; amdgpu-corpus repo=ROCm/hipCUB kind=compiled arch=gfx906 opt=O3
	.amdgcn_target "amdgcn-amd-amdhsa--gfx906"
	.amdhsa_code_object_version 6
	.section	.text._Z17warp_store_kernelILj1024ELj4ELj64ELN6hipcub18WarpStoreAlgorithmE3EiEvPT3_S3_,"axG",@progbits,_Z17warp_store_kernelILj1024ELj4ELj64ELN6hipcub18WarpStoreAlgorithmE3EiEvPT3_S3_,comdat
	.protected	_Z17warp_store_kernelILj1024ELj4ELj64ELN6hipcub18WarpStoreAlgorithmE3EiEvPT3_S3_ ; -- Begin function _Z17warp_store_kernelILj1024ELj4ELj64ELN6hipcub18WarpStoreAlgorithmE3EiEvPT3_S3_
	.globl	_Z17warp_store_kernelILj1024ELj4ELj64ELN6hipcub18WarpStoreAlgorithmE3EiEvPT3_S3_
	.p2align	8
	.type	_Z17warp_store_kernelILj1024ELj4ELj64ELN6hipcub18WarpStoreAlgorithmE3EiEvPT3_S3_,@function
_Z17warp_store_kernelILj1024ELj4ELj64ELN6hipcub18WarpStoreAlgorithmE3EiEvPT3_S3_: ; @_Z17warp_store_kernelILj1024ELj4ELj64ELN6hipcub18WarpStoreAlgorithmE3EiEvPT3_S3_
; %bb.0:
	s_load_dwordx4 s[0:3], s[4:5], 0x0
	v_lshlrev_b32_e32 v4, 4, v0
	v_mbcnt_lo_u32_b32 v5, -1, 0
	v_mbcnt_hi_u32_b32 v5, -1, v5
	v_lshlrev_b32_e32 v6, 2, v5
	s_waitcnt lgkmcnt(0)
	global_load_dwordx4 v[0:3], v4, s[0:1]
	v_and_b32_e32 v4, 0x3c00, v4
	v_lshlrev_b32_e32 v5, 4, v5
	v_add_u32_e32 v7, v4, v5
	v_or_b32_e32 v8, v4, v6
	v_mov_b32_e32 v9, s3
	v_add_co_u32_e32 v4, vcc, s2, v4
	v_addc_co_u32_e32 v9, vcc, 0, v9, vcc
	v_add_co_u32_e32 v4, vcc, v4, v6
	v_and_b32_e32 v5, 0x400, v5
	v_addc_co_u32_e32 v6, vcc, 0, v9, vcc
	v_add_co_u32_e32 v4, vcc, v4, v5
	v_addc_co_u32_e32 v5, vcc, 0, v6, vcc
	s_waitcnt vmcnt(0)
	ds_write_b128 v7, v[0:3]
	; wave barrier
	ds_read2st64_b32 v[0:1], v8 offset1:1
	ds_read2st64_b32 v[2:3], v8 offset0:2 offset1:3
	s_waitcnt lgkmcnt(1)
	global_store_dword v[4:5], v0, off
	global_store_dword v[4:5], v1, off offset:256
	s_waitcnt lgkmcnt(0)
	global_store_dword v[4:5], v2, off offset:512
	global_store_dword v[4:5], v3, off offset:768
	s_endpgm
	.section	.rodata,"a",@progbits
	.p2align	6, 0x0
	.amdhsa_kernel _Z17warp_store_kernelILj1024ELj4ELj64ELN6hipcub18WarpStoreAlgorithmE3EiEvPT3_S3_
		.amdhsa_group_segment_fixed_size 16384
		.amdhsa_private_segment_fixed_size 0
		.amdhsa_kernarg_size 16
		.amdhsa_user_sgpr_count 6
		.amdhsa_user_sgpr_private_segment_buffer 1
		.amdhsa_user_sgpr_dispatch_ptr 0
		.amdhsa_user_sgpr_queue_ptr 0
		.amdhsa_user_sgpr_kernarg_segment_ptr 1
		.amdhsa_user_sgpr_dispatch_id 0
		.amdhsa_user_sgpr_flat_scratch_init 0
		.amdhsa_user_sgpr_private_segment_size 0
		.amdhsa_uses_dynamic_stack 0
		.amdhsa_system_sgpr_private_segment_wavefront_offset 0
		.amdhsa_system_sgpr_workgroup_id_x 1
		.amdhsa_system_sgpr_workgroup_id_y 0
		.amdhsa_system_sgpr_workgroup_id_z 0
		.amdhsa_system_sgpr_workgroup_info 0
		.amdhsa_system_vgpr_workitem_id 0
		.amdhsa_next_free_vgpr 29
		.amdhsa_next_free_sgpr 61
		.amdhsa_reserve_vcc 1
		.amdhsa_reserve_flat_scratch 0
		.amdhsa_float_round_mode_32 0
		.amdhsa_float_round_mode_16_64 0
		.amdhsa_float_denorm_mode_32 3
		.amdhsa_float_denorm_mode_16_64 3
		.amdhsa_dx10_clamp 1
		.amdhsa_ieee_mode 1
		.amdhsa_fp16_overflow 0
		.amdhsa_exception_fp_ieee_invalid_op 0
		.amdhsa_exception_fp_denorm_src 0
		.amdhsa_exception_fp_ieee_div_zero 0
		.amdhsa_exception_fp_ieee_overflow 0
		.amdhsa_exception_fp_ieee_underflow 0
		.amdhsa_exception_fp_ieee_inexact 0
		.amdhsa_exception_int_div_zero 0
	.end_amdhsa_kernel
	.section	.text._Z17warp_store_kernelILj1024ELj4ELj64ELN6hipcub18WarpStoreAlgorithmE3EiEvPT3_S3_,"axG",@progbits,_Z17warp_store_kernelILj1024ELj4ELj64ELN6hipcub18WarpStoreAlgorithmE3EiEvPT3_S3_,comdat
.Lfunc_end0:
	.size	_Z17warp_store_kernelILj1024ELj4ELj64ELN6hipcub18WarpStoreAlgorithmE3EiEvPT3_S3_, .Lfunc_end0-_Z17warp_store_kernelILj1024ELj4ELj64ELN6hipcub18WarpStoreAlgorithmE3EiEvPT3_S3_
                                        ; -- End function
	.set _Z17warp_store_kernelILj1024ELj4ELj64ELN6hipcub18WarpStoreAlgorithmE3EiEvPT3_S3_.num_vgpr, 10
	.set _Z17warp_store_kernelILj1024ELj4ELj64ELN6hipcub18WarpStoreAlgorithmE3EiEvPT3_S3_.num_agpr, 0
	.set _Z17warp_store_kernelILj1024ELj4ELj64ELN6hipcub18WarpStoreAlgorithmE3EiEvPT3_S3_.numbered_sgpr, 6
	.set _Z17warp_store_kernelILj1024ELj4ELj64ELN6hipcub18WarpStoreAlgorithmE3EiEvPT3_S3_.num_named_barrier, 0
	.set _Z17warp_store_kernelILj1024ELj4ELj64ELN6hipcub18WarpStoreAlgorithmE3EiEvPT3_S3_.private_seg_size, 0
	.set _Z17warp_store_kernelILj1024ELj4ELj64ELN6hipcub18WarpStoreAlgorithmE3EiEvPT3_S3_.uses_vcc, 1
	.set _Z17warp_store_kernelILj1024ELj4ELj64ELN6hipcub18WarpStoreAlgorithmE3EiEvPT3_S3_.uses_flat_scratch, 0
	.set _Z17warp_store_kernelILj1024ELj4ELj64ELN6hipcub18WarpStoreAlgorithmE3EiEvPT3_S3_.has_dyn_sized_stack, 0
	.set _Z17warp_store_kernelILj1024ELj4ELj64ELN6hipcub18WarpStoreAlgorithmE3EiEvPT3_S3_.has_recursion, 0
	.set _Z17warp_store_kernelILj1024ELj4ELj64ELN6hipcub18WarpStoreAlgorithmE3EiEvPT3_S3_.has_indirect_call, 0
	.section	.AMDGPU.csdata,"",@progbits
; Kernel info:
; codeLenInByte = 172
; TotalNumSgprs: 10
; NumVgprs: 10
; ScratchSize: 0
; MemoryBound: 0
; FloatMode: 240
; IeeeMode: 1
; LDSByteSize: 16384 bytes/workgroup (compile time only)
; SGPRBlocks: 8
; VGPRBlocks: 7
; NumSGPRsForWavesPerEU: 65
; NumVGPRsForWavesPerEU: 29
; Occupancy: 8
; WaveLimiterHint : 1
; COMPUTE_PGM_RSRC2:SCRATCH_EN: 0
; COMPUTE_PGM_RSRC2:USER_SGPR: 6
; COMPUTE_PGM_RSRC2:TRAP_HANDLER: 0
; COMPUTE_PGM_RSRC2:TGID_X_EN: 1
; COMPUTE_PGM_RSRC2:TGID_Y_EN: 0
; COMPUTE_PGM_RSRC2:TGID_Z_EN: 0
; COMPUTE_PGM_RSRC2:TIDIG_COMP_CNT: 0
	.section	.text._Z17warp_store_kernelILj1024ELj4ELj64ELN6hipcub18WarpStoreAlgorithmE2EiEvPT3_S3_,"axG",@progbits,_Z17warp_store_kernelILj1024ELj4ELj64ELN6hipcub18WarpStoreAlgorithmE2EiEvPT3_S3_,comdat
	.protected	_Z17warp_store_kernelILj1024ELj4ELj64ELN6hipcub18WarpStoreAlgorithmE2EiEvPT3_S3_ ; -- Begin function _Z17warp_store_kernelILj1024ELj4ELj64ELN6hipcub18WarpStoreAlgorithmE2EiEvPT3_S3_
	.globl	_Z17warp_store_kernelILj1024ELj4ELj64ELN6hipcub18WarpStoreAlgorithmE2EiEvPT3_S3_
	.p2align	8
	.type	_Z17warp_store_kernelILj1024ELj4ELj64ELN6hipcub18WarpStoreAlgorithmE2EiEvPT3_S3_,@function
_Z17warp_store_kernelILj1024ELj4ELj64ELN6hipcub18WarpStoreAlgorithmE2EiEvPT3_S3_: ; @_Z17warp_store_kernelILj1024ELj4ELj64ELN6hipcub18WarpStoreAlgorithmE2EiEvPT3_S3_
; %bb.0:
	s_load_dwordx4 s[0:3], s[4:5], 0x0
	v_lshlrev_b32_e32 v4, 4, v0
	v_mbcnt_lo_u32_b32 v5, -1, 0
	v_mbcnt_hi_u32_b32 v5, -1, v5
	v_lshlrev_b32_e32 v5, 4, v5
	s_waitcnt lgkmcnt(0)
	global_load_dwordx4 v[0:3], v4, s[0:1]
	v_and_b32_e32 v4, 0x3c00, v4
	v_mov_b32_e32 v6, s3
	v_add_co_u32_e32 v4, vcc, s2, v4
	v_addc_co_u32_e32 v6, vcc, 0, v6, vcc
	v_add_co_u32_e32 v4, vcc, v4, v5
	v_addc_co_u32_e32 v5, vcc, 0, v6, vcc
	s_waitcnt vmcnt(0)
	global_store_dwordx4 v[4:5], v[0:3], off
	s_endpgm
	.section	.rodata,"a",@progbits
	.p2align	6, 0x0
	.amdhsa_kernel _Z17warp_store_kernelILj1024ELj4ELj64ELN6hipcub18WarpStoreAlgorithmE2EiEvPT3_S3_
		.amdhsa_group_segment_fixed_size 0
		.amdhsa_private_segment_fixed_size 0
		.amdhsa_kernarg_size 16
		.amdhsa_user_sgpr_count 6
		.amdhsa_user_sgpr_private_segment_buffer 1
		.amdhsa_user_sgpr_dispatch_ptr 0
		.amdhsa_user_sgpr_queue_ptr 0
		.amdhsa_user_sgpr_kernarg_segment_ptr 1
		.amdhsa_user_sgpr_dispatch_id 0
		.amdhsa_user_sgpr_flat_scratch_init 0
		.amdhsa_user_sgpr_private_segment_size 0
		.amdhsa_uses_dynamic_stack 0
		.amdhsa_system_sgpr_private_segment_wavefront_offset 0
		.amdhsa_system_sgpr_workgroup_id_x 1
		.amdhsa_system_sgpr_workgroup_id_y 0
		.amdhsa_system_sgpr_workgroup_id_z 0
		.amdhsa_system_sgpr_workgroup_info 0
		.amdhsa_system_vgpr_workitem_id 0
		.amdhsa_next_free_vgpr 7
		.amdhsa_next_free_sgpr 6
		.amdhsa_reserve_vcc 1
		.amdhsa_reserve_flat_scratch 0
		.amdhsa_float_round_mode_32 0
		.amdhsa_float_round_mode_16_64 0
		.amdhsa_float_denorm_mode_32 3
		.amdhsa_float_denorm_mode_16_64 3
		.amdhsa_dx10_clamp 1
		.amdhsa_ieee_mode 1
		.amdhsa_fp16_overflow 0
		.amdhsa_exception_fp_ieee_invalid_op 0
		.amdhsa_exception_fp_denorm_src 0
		.amdhsa_exception_fp_ieee_div_zero 0
		.amdhsa_exception_fp_ieee_overflow 0
		.amdhsa_exception_fp_ieee_underflow 0
		.amdhsa_exception_fp_ieee_inexact 0
		.amdhsa_exception_int_div_zero 0
	.end_amdhsa_kernel
	.section	.text._Z17warp_store_kernelILj1024ELj4ELj64ELN6hipcub18WarpStoreAlgorithmE2EiEvPT3_S3_,"axG",@progbits,_Z17warp_store_kernelILj1024ELj4ELj64ELN6hipcub18WarpStoreAlgorithmE2EiEvPT3_S3_,comdat
.Lfunc_end1:
	.size	_Z17warp_store_kernelILj1024ELj4ELj64ELN6hipcub18WarpStoreAlgorithmE2EiEvPT3_S3_, .Lfunc_end1-_Z17warp_store_kernelILj1024ELj4ELj64ELN6hipcub18WarpStoreAlgorithmE2EiEvPT3_S3_
                                        ; -- End function
	.set _Z17warp_store_kernelILj1024ELj4ELj64ELN6hipcub18WarpStoreAlgorithmE2EiEvPT3_S3_.num_vgpr, 7
	.set _Z17warp_store_kernelILj1024ELj4ELj64ELN6hipcub18WarpStoreAlgorithmE2EiEvPT3_S3_.num_agpr, 0
	.set _Z17warp_store_kernelILj1024ELj4ELj64ELN6hipcub18WarpStoreAlgorithmE2EiEvPT3_S3_.numbered_sgpr, 6
	.set _Z17warp_store_kernelILj1024ELj4ELj64ELN6hipcub18WarpStoreAlgorithmE2EiEvPT3_S3_.num_named_barrier, 0
	.set _Z17warp_store_kernelILj1024ELj4ELj64ELN6hipcub18WarpStoreAlgorithmE2EiEvPT3_S3_.private_seg_size, 0
	.set _Z17warp_store_kernelILj1024ELj4ELj64ELN6hipcub18WarpStoreAlgorithmE2EiEvPT3_S3_.uses_vcc, 1
	.set _Z17warp_store_kernelILj1024ELj4ELj64ELN6hipcub18WarpStoreAlgorithmE2EiEvPT3_S3_.uses_flat_scratch, 0
	.set _Z17warp_store_kernelILj1024ELj4ELj64ELN6hipcub18WarpStoreAlgorithmE2EiEvPT3_S3_.has_dyn_sized_stack, 0
	.set _Z17warp_store_kernelILj1024ELj4ELj64ELN6hipcub18WarpStoreAlgorithmE2EiEvPT3_S3_.has_recursion, 0
	.set _Z17warp_store_kernelILj1024ELj4ELj64ELN6hipcub18WarpStoreAlgorithmE2EiEvPT3_S3_.has_indirect_call, 0
	.section	.AMDGPU.csdata,"",@progbits
; Kernel info:
; codeLenInByte = 88
; TotalNumSgprs: 10
; NumVgprs: 7
; ScratchSize: 0
; MemoryBound: 0
; FloatMode: 240
; IeeeMode: 1
; LDSByteSize: 0 bytes/workgroup (compile time only)
; SGPRBlocks: 1
; VGPRBlocks: 1
; NumSGPRsForWavesPerEU: 10
; NumVGPRsForWavesPerEU: 7
; Occupancy: 10
; WaveLimiterHint : 0
; COMPUTE_PGM_RSRC2:SCRATCH_EN: 0
; COMPUTE_PGM_RSRC2:USER_SGPR: 6
; COMPUTE_PGM_RSRC2:TRAP_HANDLER: 0
; COMPUTE_PGM_RSRC2:TGID_X_EN: 1
; COMPUTE_PGM_RSRC2:TGID_Y_EN: 0
; COMPUTE_PGM_RSRC2:TGID_Z_EN: 0
; COMPUTE_PGM_RSRC2:TIDIG_COMP_CNT: 0
	.section	.text._Z17warp_store_kernelILj1024ELj4ELj64ELN6hipcub18WarpStoreAlgorithmE1EiEvPT3_S3_,"axG",@progbits,_Z17warp_store_kernelILj1024ELj4ELj64ELN6hipcub18WarpStoreAlgorithmE1EiEvPT3_S3_,comdat
	.protected	_Z17warp_store_kernelILj1024ELj4ELj64ELN6hipcub18WarpStoreAlgorithmE1EiEvPT3_S3_ ; -- Begin function _Z17warp_store_kernelILj1024ELj4ELj64ELN6hipcub18WarpStoreAlgorithmE1EiEvPT3_S3_
	.globl	_Z17warp_store_kernelILj1024ELj4ELj64ELN6hipcub18WarpStoreAlgorithmE1EiEvPT3_S3_
	.p2align	8
	.type	_Z17warp_store_kernelILj1024ELj4ELj64ELN6hipcub18WarpStoreAlgorithmE1EiEvPT3_S3_,@function
_Z17warp_store_kernelILj1024ELj4ELj64ELN6hipcub18WarpStoreAlgorithmE1EiEvPT3_S3_: ; @_Z17warp_store_kernelILj1024ELj4ELj64ELN6hipcub18WarpStoreAlgorithmE1EiEvPT3_S3_
; %bb.0:
	s_load_dwordx4 s[0:3], s[4:5], 0x0
	v_lshlrev_b32_e32 v4, 4, v0
	v_mbcnt_lo_u32_b32 v5, -1, 0
	v_mbcnt_hi_u32_b32 v5, -1, v5
	v_lshlrev_b32_e32 v6, 2, v5
	s_waitcnt lgkmcnt(0)
	global_load_dwordx4 v[0:3], v4, s[0:1]
	v_and_b32_e32 v4, 0x3c00, v4
	v_mov_b32_e32 v7, s3
	v_add_co_u32_e32 v4, vcc, s2, v4
	v_addc_co_u32_e32 v7, vcc, 0, v7, vcc
	v_lshlrev_b32_e32 v5, 4, v5
	v_add_co_u32_e32 v4, vcc, v4, v6
	v_and_b32_e32 v5, 0x400, v5
	v_addc_co_u32_e32 v6, vcc, 0, v7, vcc
	v_add_co_u32_e32 v4, vcc, v4, v5
	v_addc_co_u32_e32 v5, vcc, 0, v6, vcc
	s_waitcnt vmcnt(0)
	global_store_dword v[4:5], v0, off
	global_store_dword v[4:5], v1, off offset:256
	global_store_dword v[4:5], v2, off offset:512
	;; [unrolled: 1-line block ×3, first 2 shown]
	s_endpgm
	.section	.rodata,"a",@progbits
	.p2align	6, 0x0
	.amdhsa_kernel _Z17warp_store_kernelILj1024ELj4ELj64ELN6hipcub18WarpStoreAlgorithmE1EiEvPT3_S3_
		.amdhsa_group_segment_fixed_size 0
		.amdhsa_private_segment_fixed_size 0
		.amdhsa_kernarg_size 16
		.amdhsa_user_sgpr_count 6
		.amdhsa_user_sgpr_private_segment_buffer 1
		.amdhsa_user_sgpr_dispatch_ptr 0
		.amdhsa_user_sgpr_queue_ptr 0
		.amdhsa_user_sgpr_kernarg_segment_ptr 1
		.amdhsa_user_sgpr_dispatch_id 0
		.amdhsa_user_sgpr_flat_scratch_init 0
		.amdhsa_user_sgpr_private_segment_size 0
		.amdhsa_uses_dynamic_stack 0
		.amdhsa_system_sgpr_private_segment_wavefront_offset 0
		.amdhsa_system_sgpr_workgroup_id_x 1
		.amdhsa_system_sgpr_workgroup_id_y 0
		.amdhsa_system_sgpr_workgroup_id_z 0
		.amdhsa_system_sgpr_workgroup_info 0
		.amdhsa_system_vgpr_workitem_id 0
		.amdhsa_next_free_vgpr 8
		.amdhsa_next_free_sgpr 6
		.amdhsa_reserve_vcc 1
		.amdhsa_reserve_flat_scratch 0
		.amdhsa_float_round_mode_32 0
		.amdhsa_float_round_mode_16_64 0
		.amdhsa_float_denorm_mode_32 3
		.amdhsa_float_denorm_mode_16_64 3
		.amdhsa_dx10_clamp 1
		.amdhsa_ieee_mode 1
		.amdhsa_fp16_overflow 0
		.amdhsa_exception_fp_ieee_invalid_op 0
		.amdhsa_exception_fp_denorm_src 0
		.amdhsa_exception_fp_ieee_div_zero 0
		.amdhsa_exception_fp_ieee_overflow 0
		.amdhsa_exception_fp_ieee_underflow 0
		.amdhsa_exception_fp_ieee_inexact 0
		.amdhsa_exception_int_div_zero 0
	.end_amdhsa_kernel
	.section	.text._Z17warp_store_kernelILj1024ELj4ELj64ELN6hipcub18WarpStoreAlgorithmE1EiEvPT3_S3_,"axG",@progbits,_Z17warp_store_kernelILj1024ELj4ELj64ELN6hipcub18WarpStoreAlgorithmE1EiEvPT3_S3_,comdat
.Lfunc_end2:
	.size	_Z17warp_store_kernelILj1024ELj4ELj64ELN6hipcub18WarpStoreAlgorithmE1EiEvPT3_S3_, .Lfunc_end2-_Z17warp_store_kernelILj1024ELj4ELj64ELN6hipcub18WarpStoreAlgorithmE1EiEvPT3_S3_
                                        ; -- End function
	.set _Z17warp_store_kernelILj1024ELj4ELj64ELN6hipcub18WarpStoreAlgorithmE1EiEvPT3_S3_.num_vgpr, 8
	.set _Z17warp_store_kernelILj1024ELj4ELj64ELN6hipcub18WarpStoreAlgorithmE1EiEvPT3_S3_.num_agpr, 0
	.set _Z17warp_store_kernelILj1024ELj4ELj64ELN6hipcub18WarpStoreAlgorithmE1EiEvPT3_S3_.numbered_sgpr, 6
	.set _Z17warp_store_kernelILj1024ELj4ELj64ELN6hipcub18WarpStoreAlgorithmE1EiEvPT3_S3_.num_named_barrier, 0
	.set _Z17warp_store_kernelILj1024ELj4ELj64ELN6hipcub18WarpStoreAlgorithmE1EiEvPT3_S3_.private_seg_size, 0
	.set _Z17warp_store_kernelILj1024ELj4ELj64ELN6hipcub18WarpStoreAlgorithmE1EiEvPT3_S3_.uses_vcc, 1
	.set _Z17warp_store_kernelILj1024ELj4ELj64ELN6hipcub18WarpStoreAlgorithmE1EiEvPT3_S3_.uses_flat_scratch, 0
	.set _Z17warp_store_kernelILj1024ELj4ELj64ELN6hipcub18WarpStoreAlgorithmE1EiEvPT3_S3_.has_dyn_sized_stack, 0
	.set _Z17warp_store_kernelILj1024ELj4ELj64ELN6hipcub18WarpStoreAlgorithmE1EiEvPT3_S3_.has_recursion, 0
	.set _Z17warp_store_kernelILj1024ELj4ELj64ELN6hipcub18WarpStoreAlgorithmE1EiEvPT3_S3_.has_indirect_call, 0
	.section	.AMDGPU.csdata,"",@progbits
; Kernel info:
; codeLenInByte = 132
; TotalNumSgprs: 10
; NumVgprs: 8
; ScratchSize: 0
; MemoryBound: 0
; FloatMode: 240
; IeeeMode: 1
; LDSByteSize: 0 bytes/workgroup (compile time only)
; SGPRBlocks: 1
; VGPRBlocks: 1
; NumSGPRsForWavesPerEU: 10
; NumVGPRsForWavesPerEU: 8
; Occupancy: 10
; WaveLimiterHint : 1
; COMPUTE_PGM_RSRC2:SCRATCH_EN: 0
; COMPUTE_PGM_RSRC2:USER_SGPR: 6
; COMPUTE_PGM_RSRC2:TRAP_HANDLER: 0
; COMPUTE_PGM_RSRC2:TGID_X_EN: 1
; COMPUTE_PGM_RSRC2:TGID_Y_EN: 0
; COMPUTE_PGM_RSRC2:TGID_Z_EN: 0
; COMPUTE_PGM_RSRC2:TIDIG_COMP_CNT: 0
	.section	.text._Z17warp_store_kernelILj1024ELj4ELj64ELN6hipcub18WarpStoreAlgorithmE0EiEvPT3_S3_,"axG",@progbits,_Z17warp_store_kernelILj1024ELj4ELj64ELN6hipcub18WarpStoreAlgorithmE0EiEvPT3_S3_,comdat
	.protected	_Z17warp_store_kernelILj1024ELj4ELj64ELN6hipcub18WarpStoreAlgorithmE0EiEvPT3_S3_ ; -- Begin function _Z17warp_store_kernelILj1024ELj4ELj64ELN6hipcub18WarpStoreAlgorithmE0EiEvPT3_S3_
	.globl	_Z17warp_store_kernelILj1024ELj4ELj64ELN6hipcub18WarpStoreAlgorithmE0EiEvPT3_S3_
	.p2align	8
	.type	_Z17warp_store_kernelILj1024ELj4ELj64ELN6hipcub18WarpStoreAlgorithmE0EiEvPT3_S3_,@function
_Z17warp_store_kernelILj1024ELj4ELj64ELN6hipcub18WarpStoreAlgorithmE0EiEvPT3_S3_: ; @_Z17warp_store_kernelILj1024ELj4ELj64ELN6hipcub18WarpStoreAlgorithmE0EiEvPT3_S3_
; %bb.0:
	s_load_dwordx4 s[0:3], s[4:5], 0x0
	v_lshlrev_b32_e32 v4, 4, v0
	v_mbcnt_lo_u32_b32 v5, -1, 0
	v_mbcnt_hi_u32_b32 v5, -1, v5
	v_lshlrev_b32_e32 v5, 4, v5
	s_waitcnt lgkmcnt(0)
	global_load_dwordx4 v[0:3], v4, s[0:1]
	v_and_b32_e32 v4, 0x3c00, v4
	v_mov_b32_e32 v6, s3
	v_add_co_u32_e32 v4, vcc, s2, v4
	v_addc_co_u32_e32 v6, vcc, 0, v6, vcc
	v_add_co_u32_e32 v4, vcc, v4, v5
	v_addc_co_u32_e32 v5, vcc, 0, v6, vcc
	s_waitcnt vmcnt(0)
	global_store_dwordx4 v[4:5], v[0:3], off
	s_endpgm
	.section	.rodata,"a",@progbits
	.p2align	6, 0x0
	.amdhsa_kernel _Z17warp_store_kernelILj1024ELj4ELj64ELN6hipcub18WarpStoreAlgorithmE0EiEvPT3_S3_
		.amdhsa_group_segment_fixed_size 0
		.amdhsa_private_segment_fixed_size 0
		.amdhsa_kernarg_size 16
		.amdhsa_user_sgpr_count 6
		.amdhsa_user_sgpr_private_segment_buffer 1
		.amdhsa_user_sgpr_dispatch_ptr 0
		.amdhsa_user_sgpr_queue_ptr 0
		.amdhsa_user_sgpr_kernarg_segment_ptr 1
		.amdhsa_user_sgpr_dispatch_id 0
		.amdhsa_user_sgpr_flat_scratch_init 0
		.amdhsa_user_sgpr_private_segment_size 0
		.amdhsa_uses_dynamic_stack 0
		.amdhsa_system_sgpr_private_segment_wavefront_offset 0
		.amdhsa_system_sgpr_workgroup_id_x 1
		.amdhsa_system_sgpr_workgroup_id_y 0
		.amdhsa_system_sgpr_workgroup_id_z 0
		.amdhsa_system_sgpr_workgroup_info 0
		.amdhsa_system_vgpr_workitem_id 0
		.amdhsa_next_free_vgpr 7
		.amdhsa_next_free_sgpr 6
		.amdhsa_reserve_vcc 1
		.amdhsa_reserve_flat_scratch 0
		.amdhsa_float_round_mode_32 0
		.amdhsa_float_round_mode_16_64 0
		.amdhsa_float_denorm_mode_32 3
		.amdhsa_float_denorm_mode_16_64 3
		.amdhsa_dx10_clamp 1
		.amdhsa_ieee_mode 1
		.amdhsa_fp16_overflow 0
		.amdhsa_exception_fp_ieee_invalid_op 0
		.amdhsa_exception_fp_denorm_src 0
		.amdhsa_exception_fp_ieee_div_zero 0
		.amdhsa_exception_fp_ieee_overflow 0
		.amdhsa_exception_fp_ieee_underflow 0
		.amdhsa_exception_fp_ieee_inexact 0
		.amdhsa_exception_int_div_zero 0
	.end_amdhsa_kernel
	.section	.text._Z17warp_store_kernelILj1024ELj4ELj64ELN6hipcub18WarpStoreAlgorithmE0EiEvPT3_S3_,"axG",@progbits,_Z17warp_store_kernelILj1024ELj4ELj64ELN6hipcub18WarpStoreAlgorithmE0EiEvPT3_S3_,comdat
.Lfunc_end3:
	.size	_Z17warp_store_kernelILj1024ELj4ELj64ELN6hipcub18WarpStoreAlgorithmE0EiEvPT3_S3_, .Lfunc_end3-_Z17warp_store_kernelILj1024ELj4ELj64ELN6hipcub18WarpStoreAlgorithmE0EiEvPT3_S3_
                                        ; -- End function
	.set _Z17warp_store_kernelILj1024ELj4ELj64ELN6hipcub18WarpStoreAlgorithmE0EiEvPT3_S3_.num_vgpr, 7
	.set _Z17warp_store_kernelILj1024ELj4ELj64ELN6hipcub18WarpStoreAlgorithmE0EiEvPT3_S3_.num_agpr, 0
	.set _Z17warp_store_kernelILj1024ELj4ELj64ELN6hipcub18WarpStoreAlgorithmE0EiEvPT3_S3_.numbered_sgpr, 6
	.set _Z17warp_store_kernelILj1024ELj4ELj64ELN6hipcub18WarpStoreAlgorithmE0EiEvPT3_S3_.num_named_barrier, 0
	.set _Z17warp_store_kernelILj1024ELj4ELj64ELN6hipcub18WarpStoreAlgorithmE0EiEvPT3_S3_.private_seg_size, 0
	.set _Z17warp_store_kernelILj1024ELj4ELj64ELN6hipcub18WarpStoreAlgorithmE0EiEvPT3_S3_.uses_vcc, 1
	.set _Z17warp_store_kernelILj1024ELj4ELj64ELN6hipcub18WarpStoreAlgorithmE0EiEvPT3_S3_.uses_flat_scratch, 0
	.set _Z17warp_store_kernelILj1024ELj4ELj64ELN6hipcub18WarpStoreAlgorithmE0EiEvPT3_S3_.has_dyn_sized_stack, 0
	.set _Z17warp_store_kernelILj1024ELj4ELj64ELN6hipcub18WarpStoreAlgorithmE0EiEvPT3_S3_.has_recursion, 0
	.set _Z17warp_store_kernelILj1024ELj4ELj64ELN6hipcub18WarpStoreAlgorithmE0EiEvPT3_S3_.has_indirect_call, 0
	.section	.AMDGPU.csdata,"",@progbits
; Kernel info:
; codeLenInByte = 88
; TotalNumSgprs: 10
; NumVgprs: 7
; ScratchSize: 0
; MemoryBound: 0
; FloatMode: 240
; IeeeMode: 1
; LDSByteSize: 0 bytes/workgroup (compile time only)
; SGPRBlocks: 1
; VGPRBlocks: 1
; NumSGPRsForWavesPerEU: 10
; NumVGPRsForWavesPerEU: 7
; Occupancy: 10
; WaveLimiterHint : 0
; COMPUTE_PGM_RSRC2:SCRATCH_EN: 0
; COMPUTE_PGM_RSRC2:USER_SGPR: 6
; COMPUTE_PGM_RSRC2:TRAP_HANDLER: 0
; COMPUTE_PGM_RSRC2:TGID_X_EN: 1
; COMPUTE_PGM_RSRC2:TGID_Y_EN: 0
; COMPUTE_PGM_RSRC2:TGID_Z_EN: 0
; COMPUTE_PGM_RSRC2:TIDIG_COMP_CNT: 0
	.section	.text._Z17warp_store_kernelILj1024ELj4ELj32ELN6hipcub18WarpStoreAlgorithmE3EiEvPT3_S3_,"axG",@progbits,_Z17warp_store_kernelILj1024ELj4ELj32ELN6hipcub18WarpStoreAlgorithmE3EiEvPT3_S3_,comdat
	.protected	_Z17warp_store_kernelILj1024ELj4ELj32ELN6hipcub18WarpStoreAlgorithmE3EiEvPT3_S3_ ; -- Begin function _Z17warp_store_kernelILj1024ELj4ELj32ELN6hipcub18WarpStoreAlgorithmE3EiEvPT3_S3_
	.globl	_Z17warp_store_kernelILj1024ELj4ELj32ELN6hipcub18WarpStoreAlgorithmE3EiEvPT3_S3_
	.p2align	8
	.type	_Z17warp_store_kernelILj1024ELj4ELj32ELN6hipcub18WarpStoreAlgorithmE3EiEvPT3_S3_,@function
_Z17warp_store_kernelILj1024ELj4ELj32ELN6hipcub18WarpStoreAlgorithmE3EiEvPT3_S3_: ; @_Z17warp_store_kernelILj1024ELj4ELj32ELN6hipcub18WarpStoreAlgorithmE3EiEvPT3_S3_
; %bb.0:
	s_load_dwordx4 s[0:3], s[4:5], 0x0
	v_lshlrev_b32_e32 v4, 4, v0
	v_mbcnt_lo_u32_b32 v5, -1, 0
	v_mbcnt_hi_u32_b32 v5, -1, v5
	v_and_b32_e32 v5, 31, v5
	s_waitcnt lgkmcnt(0)
	global_load_dwordx4 v[0:3], v4, s[0:1]
	v_and_b32_e32 v4, 0x3e00, v4
	v_lshl_or_b32 v6, v5, 4, v4
	v_lshlrev_b32_e32 v7, 2, v5
	v_mad_i32_i24 v5, v5, -12, v6
	v_mov_b32_e32 v8, s3
	v_add_co_u32_e32 v4, vcc, s2, v4
	v_addc_co_u32_e32 v8, vcc, 0, v8, vcc
	v_add_co_u32_e32 v4, vcc, v4, v7
	s_waitcnt vmcnt(0)
	ds_write_b128 v6, v[0:3]
	; wave barrier
	ds_read2_b32 v[0:1], v5 offset1:32
	ds_read2_b32 v[2:3], v5 offset0:64 offset1:96
	v_addc_co_u32_e32 v5, vcc, 0, v8, vcc
	s_waitcnt lgkmcnt(1)
	global_store_dword v[4:5], v0, off
	global_store_dword v[4:5], v1, off offset:128
	s_waitcnt lgkmcnt(0)
	global_store_dword v[4:5], v2, off offset:256
	global_store_dword v[4:5], v3, off offset:384
	s_endpgm
	.section	.rodata,"a",@progbits
	.p2align	6, 0x0
	.amdhsa_kernel _Z17warp_store_kernelILj1024ELj4ELj32ELN6hipcub18WarpStoreAlgorithmE3EiEvPT3_S3_
		.amdhsa_group_segment_fixed_size 16384
		.amdhsa_private_segment_fixed_size 0
		.amdhsa_kernarg_size 16
		.amdhsa_user_sgpr_count 6
		.amdhsa_user_sgpr_private_segment_buffer 1
		.amdhsa_user_sgpr_dispatch_ptr 0
		.amdhsa_user_sgpr_queue_ptr 0
		.amdhsa_user_sgpr_kernarg_segment_ptr 1
		.amdhsa_user_sgpr_dispatch_id 0
		.amdhsa_user_sgpr_flat_scratch_init 0
		.amdhsa_user_sgpr_private_segment_size 0
		.amdhsa_uses_dynamic_stack 0
		.amdhsa_system_sgpr_private_segment_wavefront_offset 0
		.amdhsa_system_sgpr_workgroup_id_x 1
		.amdhsa_system_sgpr_workgroup_id_y 0
		.amdhsa_system_sgpr_workgroup_id_z 0
		.amdhsa_system_sgpr_workgroup_info 0
		.amdhsa_system_vgpr_workitem_id 0
		.amdhsa_next_free_vgpr 29
		.amdhsa_next_free_sgpr 61
		.amdhsa_reserve_vcc 1
		.amdhsa_reserve_flat_scratch 0
		.amdhsa_float_round_mode_32 0
		.amdhsa_float_round_mode_16_64 0
		.amdhsa_float_denorm_mode_32 3
		.amdhsa_float_denorm_mode_16_64 3
		.amdhsa_dx10_clamp 1
		.amdhsa_ieee_mode 1
		.amdhsa_fp16_overflow 0
		.amdhsa_exception_fp_ieee_invalid_op 0
		.amdhsa_exception_fp_denorm_src 0
		.amdhsa_exception_fp_ieee_div_zero 0
		.amdhsa_exception_fp_ieee_overflow 0
		.amdhsa_exception_fp_ieee_underflow 0
		.amdhsa_exception_fp_ieee_inexact 0
		.amdhsa_exception_int_div_zero 0
	.end_amdhsa_kernel
	.section	.text._Z17warp_store_kernelILj1024ELj4ELj32ELN6hipcub18WarpStoreAlgorithmE3EiEvPT3_S3_,"axG",@progbits,_Z17warp_store_kernelILj1024ELj4ELj32ELN6hipcub18WarpStoreAlgorithmE3EiEvPT3_S3_,comdat
.Lfunc_end4:
	.size	_Z17warp_store_kernelILj1024ELj4ELj32ELN6hipcub18WarpStoreAlgorithmE3EiEvPT3_S3_, .Lfunc_end4-_Z17warp_store_kernelILj1024ELj4ELj32ELN6hipcub18WarpStoreAlgorithmE3EiEvPT3_S3_
                                        ; -- End function
	.set _Z17warp_store_kernelILj1024ELj4ELj32ELN6hipcub18WarpStoreAlgorithmE3EiEvPT3_S3_.num_vgpr, 9
	.set _Z17warp_store_kernelILj1024ELj4ELj32ELN6hipcub18WarpStoreAlgorithmE3EiEvPT3_S3_.num_agpr, 0
	.set _Z17warp_store_kernelILj1024ELj4ELj32ELN6hipcub18WarpStoreAlgorithmE3EiEvPT3_S3_.numbered_sgpr, 6
	.set _Z17warp_store_kernelILj1024ELj4ELj32ELN6hipcub18WarpStoreAlgorithmE3EiEvPT3_S3_.num_named_barrier, 0
	.set _Z17warp_store_kernelILj1024ELj4ELj32ELN6hipcub18WarpStoreAlgorithmE3EiEvPT3_S3_.private_seg_size, 0
	.set _Z17warp_store_kernelILj1024ELj4ELj32ELN6hipcub18WarpStoreAlgorithmE3EiEvPT3_S3_.uses_vcc, 1
	.set _Z17warp_store_kernelILj1024ELj4ELj32ELN6hipcub18WarpStoreAlgorithmE3EiEvPT3_S3_.uses_flat_scratch, 0
	.set _Z17warp_store_kernelILj1024ELj4ELj32ELN6hipcub18WarpStoreAlgorithmE3EiEvPT3_S3_.has_dyn_sized_stack, 0
	.set _Z17warp_store_kernelILj1024ELj4ELj32ELN6hipcub18WarpStoreAlgorithmE3EiEvPT3_S3_.has_recursion, 0
	.set _Z17warp_store_kernelILj1024ELj4ELj32ELN6hipcub18WarpStoreAlgorithmE3EiEvPT3_S3_.has_indirect_call, 0
	.section	.AMDGPU.csdata,"",@progbits
; Kernel info:
; codeLenInByte = 164
; TotalNumSgprs: 10
; NumVgprs: 9
; ScratchSize: 0
; MemoryBound: 0
; FloatMode: 240
; IeeeMode: 1
; LDSByteSize: 16384 bytes/workgroup (compile time only)
; SGPRBlocks: 8
; VGPRBlocks: 7
; NumSGPRsForWavesPerEU: 65
; NumVGPRsForWavesPerEU: 29
; Occupancy: 8
; WaveLimiterHint : 1
; COMPUTE_PGM_RSRC2:SCRATCH_EN: 0
; COMPUTE_PGM_RSRC2:USER_SGPR: 6
; COMPUTE_PGM_RSRC2:TRAP_HANDLER: 0
; COMPUTE_PGM_RSRC2:TGID_X_EN: 1
; COMPUTE_PGM_RSRC2:TGID_Y_EN: 0
; COMPUTE_PGM_RSRC2:TGID_Z_EN: 0
; COMPUTE_PGM_RSRC2:TIDIG_COMP_CNT: 0
	.section	.text._Z17warp_store_kernelILj1024ELj4ELj32ELN6hipcub18WarpStoreAlgorithmE2EiEvPT3_S3_,"axG",@progbits,_Z17warp_store_kernelILj1024ELj4ELj32ELN6hipcub18WarpStoreAlgorithmE2EiEvPT3_S3_,comdat
	.protected	_Z17warp_store_kernelILj1024ELj4ELj32ELN6hipcub18WarpStoreAlgorithmE2EiEvPT3_S3_ ; -- Begin function _Z17warp_store_kernelILj1024ELj4ELj32ELN6hipcub18WarpStoreAlgorithmE2EiEvPT3_S3_
	.globl	_Z17warp_store_kernelILj1024ELj4ELj32ELN6hipcub18WarpStoreAlgorithmE2EiEvPT3_S3_
	.p2align	8
	.type	_Z17warp_store_kernelILj1024ELj4ELj32ELN6hipcub18WarpStoreAlgorithmE2EiEvPT3_S3_,@function
_Z17warp_store_kernelILj1024ELj4ELj32ELN6hipcub18WarpStoreAlgorithmE2EiEvPT3_S3_: ; @_Z17warp_store_kernelILj1024ELj4ELj32ELN6hipcub18WarpStoreAlgorithmE2EiEvPT3_S3_
; %bb.0:
	s_load_dwordx4 s[0:3], s[4:5], 0x0
	v_lshlrev_b32_e32 v4, 4, v0
	v_mbcnt_lo_u32_b32 v5, -1, 0
	v_mbcnt_hi_u32_b32 v5, -1, v5
	v_and_b32_e32 v5, 31, v5
	s_waitcnt lgkmcnt(0)
	global_load_dwordx4 v[0:3], v4, s[0:1]
	v_and_b32_e32 v4, 0x3e00, v4
	v_mov_b32_e32 v6, s3
	v_add_co_u32_e32 v4, vcc, s2, v4
	v_addc_co_u32_e32 v6, vcc, 0, v6, vcc
	v_lshlrev_b32_e32 v5, 4, v5
	v_add_co_u32_e32 v4, vcc, v4, v5
	v_addc_co_u32_e32 v5, vcc, 0, v6, vcc
	s_waitcnt vmcnt(0)
	global_store_dwordx4 v[4:5], v[0:3], off
	s_endpgm
	.section	.rodata,"a",@progbits
	.p2align	6, 0x0
	.amdhsa_kernel _Z17warp_store_kernelILj1024ELj4ELj32ELN6hipcub18WarpStoreAlgorithmE2EiEvPT3_S3_
		.amdhsa_group_segment_fixed_size 0
		.amdhsa_private_segment_fixed_size 0
		.amdhsa_kernarg_size 16
		.amdhsa_user_sgpr_count 6
		.amdhsa_user_sgpr_private_segment_buffer 1
		.amdhsa_user_sgpr_dispatch_ptr 0
		.amdhsa_user_sgpr_queue_ptr 0
		.amdhsa_user_sgpr_kernarg_segment_ptr 1
		.amdhsa_user_sgpr_dispatch_id 0
		.amdhsa_user_sgpr_flat_scratch_init 0
		.amdhsa_user_sgpr_private_segment_size 0
		.amdhsa_uses_dynamic_stack 0
		.amdhsa_system_sgpr_private_segment_wavefront_offset 0
		.amdhsa_system_sgpr_workgroup_id_x 1
		.amdhsa_system_sgpr_workgroup_id_y 0
		.amdhsa_system_sgpr_workgroup_id_z 0
		.amdhsa_system_sgpr_workgroup_info 0
		.amdhsa_system_vgpr_workitem_id 0
		.amdhsa_next_free_vgpr 7
		.amdhsa_next_free_sgpr 6
		.amdhsa_reserve_vcc 1
		.amdhsa_reserve_flat_scratch 0
		.amdhsa_float_round_mode_32 0
		.amdhsa_float_round_mode_16_64 0
		.amdhsa_float_denorm_mode_32 3
		.amdhsa_float_denorm_mode_16_64 3
		.amdhsa_dx10_clamp 1
		.amdhsa_ieee_mode 1
		.amdhsa_fp16_overflow 0
		.amdhsa_exception_fp_ieee_invalid_op 0
		.amdhsa_exception_fp_denorm_src 0
		.amdhsa_exception_fp_ieee_div_zero 0
		.amdhsa_exception_fp_ieee_overflow 0
		.amdhsa_exception_fp_ieee_underflow 0
		.amdhsa_exception_fp_ieee_inexact 0
		.amdhsa_exception_int_div_zero 0
	.end_amdhsa_kernel
	.section	.text._Z17warp_store_kernelILj1024ELj4ELj32ELN6hipcub18WarpStoreAlgorithmE2EiEvPT3_S3_,"axG",@progbits,_Z17warp_store_kernelILj1024ELj4ELj32ELN6hipcub18WarpStoreAlgorithmE2EiEvPT3_S3_,comdat
.Lfunc_end5:
	.size	_Z17warp_store_kernelILj1024ELj4ELj32ELN6hipcub18WarpStoreAlgorithmE2EiEvPT3_S3_, .Lfunc_end5-_Z17warp_store_kernelILj1024ELj4ELj32ELN6hipcub18WarpStoreAlgorithmE2EiEvPT3_S3_
                                        ; -- End function
	.set _Z17warp_store_kernelILj1024ELj4ELj32ELN6hipcub18WarpStoreAlgorithmE2EiEvPT3_S3_.num_vgpr, 7
	.set _Z17warp_store_kernelILj1024ELj4ELj32ELN6hipcub18WarpStoreAlgorithmE2EiEvPT3_S3_.num_agpr, 0
	.set _Z17warp_store_kernelILj1024ELj4ELj32ELN6hipcub18WarpStoreAlgorithmE2EiEvPT3_S3_.numbered_sgpr, 6
	.set _Z17warp_store_kernelILj1024ELj4ELj32ELN6hipcub18WarpStoreAlgorithmE2EiEvPT3_S3_.num_named_barrier, 0
	.set _Z17warp_store_kernelILj1024ELj4ELj32ELN6hipcub18WarpStoreAlgorithmE2EiEvPT3_S3_.private_seg_size, 0
	.set _Z17warp_store_kernelILj1024ELj4ELj32ELN6hipcub18WarpStoreAlgorithmE2EiEvPT3_S3_.uses_vcc, 1
	.set _Z17warp_store_kernelILj1024ELj4ELj32ELN6hipcub18WarpStoreAlgorithmE2EiEvPT3_S3_.uses_flat_scratch, 0
	.set _Z17warp_store_kernelILj1024ELj4ELj32ELN6hipcub18WarpStoreAlgorithmE2EiEvPT3_S3_.has_dyn_sized_stack, 0
	.set _Z17warp_store_kernelILj1024ELj4ELj32ELN6hipcub18WarpStoreAlgorithmE2EiEvPT3_S3_.has_recursion, 0
	.set _Z17warp_store_kernelILj1024ELj4ELj32ELN6hipcub18WarpStoreAlgorithmE2EiEvPT3_S3_.has_indirect_call, 0
	.section	.AMDGPU.csdata,"",@progbits
; Kernel info:
; codeLenInByte = 92
; TotalNumSgprs: 10
; NumVgprs: 7
; ScratchSize: 0
; MemoryBound: 0
; FloatMode: 240
; IeeeMode: 1
; LDSByteSize: 0 bytes/workgroup (compile time only)
; SGPRBlocks: 1
; VGPRBlocks: 1
; NumSGPRsForWavesPerEU: 10
; NumVGPRsForWavesPerEU: 7
; Occupancy: 10
; WaveLimiterHint : 0
; COMPUTE_PGM_RSRC2:SCRATCH_EN: 0
; COMPUTE_PGM_RSRC2:USER_SGPR: 6
; COMPUTE_PGM_RSRC2:TRAP_HANDLER: 0
; COMPUTE_PGM_RSRC2:TGID_X_EN: 1
; COMPUTE_PGM_RSRC2:TGID_Y_EN: 0
; COMPUTE_PGM_RSRC2:TGID_Z_EN: 0
; COMPUTE_PGM_RSRC2:TIDIG_COMP_CNT: 0
	.section	.text._Z17warp_store_kernelILj1024ELj4ELj32ELN6hipcub18WarpStoreAlgorithmE1EiEvPT3_S3_,"axG",@progbits,_Z17warp_store_kernelILj1024ELj4ELj32ELN6hipcub18WarpStoreAlgorithmE1EiEvPT3_S3_,comdat
	.protected	_Z17warp_store_kernelILj1024ELj4ELj32ELN6hipcub18WarpStoreAlgorithmE1EiEvPT3_S3_ ; -- Begin function _Z17warp_store_kernelILj1024ELj4ELj32ELN6hipcub18WarpStoreAlgorithmE1EiEvPT3_S3_
	.globl	_Z17warp_store_kernelILj1024ELj4ELj32ELN6hipcub18WarpStoreAlgorithmE1EiEvPT3_S3_
	.p2align	8
	.type	_Z17warp_store_kernelILj1024ELj4ELj32ELN6hipcub18WarpStoreAlgorithmE1EiEvPT3_S3_,@function
_Z17warp_store_kernelILj1024ELj4ELj32ELN6hipcub18WarpStoreAlgorithmE1EiEvPT3_S3_: ; @_Z17warp_store_kernelILj1024ELj4ELj32ELN6hipcub18WarpStoreAlgorithmE1EiEvPT3_S3_
; %bb.0:
	s_load_dwordx4 s[0:3], s[4:5], 0x0
	v_lshlrev_b32_e32 v4, 4, v0
	v_mbcnt_lo_u32_b32 v5, -1, 0
	v_mbcnt_hi_u32_b32 v5, -1, v5
	v_and_b32_e32 v5, 31, v5
	s_waitcnt lgkmcnt(0)
	global_load_dwordx4 v[0:3], v4, s[0:1]
	v_and_b32_e32 v4, 0x3e00, v4
	v_mov_b32_e32 v6, s3
	v_add_co_u32_e32 v4, vcc, s2, v4
	v_lshlrev_b32_e32 v5, 2, v5
	v_addc_co_u32_e32 v6, vcc, 0, v6, vcc
	v_add_co_u32_e32 v4, vcc, v4, v5
	v_addc_co_u32_e32 v5, vcc, 0, v6, vcc
	s_waitcnt vmcnt(0)
	global_store_dword v[4:5], v0, off
	global_store_dword v[4:5], v1, off offset:128
	global_store_dword v[4:5], v2, off offset:256
	global_store_dword v[4:5], v3, off offset:384
	s_endpgm
	.section	.rodata,"a",@progbits
	.p2align	6, 0x0
	.amdhsa_kernel _Z17warp_store_kernelILj1024ELj4ELj32ELN6hipcub18WarpStoreAlgorithmE1EiEvPT3_S3_
		.amdhsa_group_segment_fixed_size 0
		.amdhsa_private_segment_fixed_size 0
		.amdhsa_kernarg_size 16
		.amdhsa_user_sgpr_count 6
		.amdhsa_user_sgpr_private_segment_buffer 1
		.amdhsa_user_sgpr_dispatch_ptr 0
		.amdhsa_user_sgpr_queue_ptr 0
		.amdhsa_user_sgpr_kernarg_segment_ptr 1
		.amdhsa_user_sgpr_dispatch_id 0
		.amdhsa_user_sgpr_flat_scratch_init 0
		.amdhsa_user_sgpr_private_segment_size 0
		.amdhsa_uses_dynamic_stack 0
		.amdhsa_system_sgpr_private_segment_wavefront_offset 0
		.amdhsa_system_sgpr_workgroup_id_x 1
		.amdhsa_system_sgpr_workgroup_id_y 0
		.amdhsa_system_sgpr_workgroup_id_z 0
		.amdhsa_system_sgpr_workgroup_info 0
		.amdhsa_system_vgpr_workitem_id 0
		.amdhsa_next_free_vgpr 7
		.amdhsa_next_free_sgpr 6
		.amdhsa_reserve_vcc 1
		.amdhsa_reserve_flat_scratch 0
		.amdhsa_float_round_mode_32 0
		.amdhsa_float_round_mode_16_64 0
		.amdhsa_float_denorm_mode_32 3
		.amdhsa_float_denorm_mode_16_64 3
		.amdhsa_dx10_clamp 1
		.amdhsa_ieee_mode 1
		.amdhsa_fp16_overflow 0
		.amdhsa_exception_fp_ieee_invalid_op 0
		.amdhsa_exception_fp_denorm_src 0
		.amdhsa_exception_fp_ieee_div_zero 0
		.amdhsa_exception_fp_ieee_overflow 0
		.amdhsa_exception_fp_ieee_underflow 0
		.amdhsa_exception_fp_ieee_inexact 0
		.amdhsa_exception_int_div_zero 0
	.end_amdhsa_kernel
	.section	.text._Z17warp_store_kernelILj1024ELj4ELj32ELN6hipcub18WarpStoreAlgorithmE1EiEvPT3_S3_,"axG",@progbits,_Z17warp_store_kernelILj1024ELj4ELj32ELN6hipcub18WarpStoreAlgorithmE1EiEvPT3_S3_,comdat
.Lfunc_end6:
	.size	_Z17warp_store_kernelILj1024ELj4ELj32ELN6hipcub18WarpStoreAlgorithmE1EiEvPT3_S3_, .Lfunc_end6-_Z17warp_store_kernelILj1024ELj4ELj32ELN6hipcub18WarpStoreAlgorithmE1EiEvPT3_S3_
                                        ; -- End function
	.set _Z17warp_store_kernelILj1024ELj4ELj32ELN6hipcub18WarpStoreAlgorithmE1EiEvPT3_S3_.num_vgpr, 7
	.set _Z17warp_store_kernelILj1024ELj4ELj32ELN6hipcub18WarpStoreAlgorithmE1EiEvPT3_S3_.num_agpr, 0
	.set _Z17warp_store_kernelILj1024ELj4ELj32ELN6hipcub18WarpStoreAlgorithmE1EiEvPT3_S3_.numbered_sgpr, 6
	.set _Z17warp_store_kernelILj1024ELj4ELj32ELN6hipcub18WarpStoreAlgorithmE1EiEvPT3_S3_.num_named_barrier, 0
	.set _Z17warp_store_kernelILj1024ELj4ELj32ELN6hipcub18WarpStoreAlgorithmE1EiEvPT3_S3_.private_seg_size, 0
	.set _Z17warp_store_kernelILj1024ELj4ELj32ELN6hipcub18WarpStoreAlgorithmE1EiEvPT3_S3_.uses_vcc, 1
	.set _Z17warp_store_kernelILj1024ELj4ELj32ELN6hipcub18WarpStoreAlgorithmE1EiEvPT3_S3_.uses_flat_scratch, 0
	.set _Z17warp_store_kernelILj1024ELj4ELj32ELN6hipcub18WarpStoreAlgorithmE1EiEvPT3_S3_.has_dyn_sized_stack, 0
	.set _Z17warp_store_kernelILj1024ELj4ELj32ELN6hipcub18WarpStoreAlgorithmE1EiEvPT3_S3_.has_recursion, 0
	.set _Z17warp_store_kernelILj1024ELj4ELj32ELN6hipcub18WarpStoreAlgorithmE1EiEvPT3_S3_.has_indirect_call, 0
	.section	.AMDGPU.csdata,"",@progbits
; Kernel info:
; codeLenInByte = 116
; TotalNumSgprs: 10
; NumVgprs: 7
; ScratchSize: 0
; MemoryBound: 0
; FloatMode: 240
; IeeeMode: 1
; LDSByteSize: 0 bytes/workgroup (compile time only)
; SGPRBlocks: 1
; VGPRBlocks: 1
; NumSGPRsForWavesPerEU: 10
; NumVGPRsForWavesPerEU: 7
; Occupancy: 10
; WaveLimiterHint : 1
; COMPUTE_PGM_RSRC2:SCRATCH_EN: 0
; COMPUTE_PGM_RSRC2:USER_SGPR: 6
; COMPUTE_PGM_RSRC2:TRAP_HANDLER: 0
; COMPUTE_PGM_RSRC2:TGID_X_EN: 1
; COMPUTE_PGM_RSRC2:TGID_Y_EN: 0
; COMPUTE_PGM_RSRC2:TGID_Z_EN: 0
; COMPUTE_PGM_RSRC2:TIDIG_COMP_CNT: 0
	.section	.text._Z17warp_store_kernelILj1024ELj4ELj32ELN6hipcub18WarpStoreAlgorithmE0EiEvPT3_S3_,"axG",@progbits,_Z17warp_store_kernelILj1024ELj4ELj32ELN6hipcub18WarpStoreAlgorithmE0EiEvPT3_S3_,comdat
	.protected	_Z17warp_store_kernelILj1024ELj4ELj32ELN6hipcub18WarpStoreAlgorithmE0EiEvPT3_S3_ ; -- Begin function _Z17warp_store_kernelILj1024ELj4ELj32ELN6hipcub18WarpStoreAlgorithmE0EiEvPT3_S3_
	.globl	_Z17warp_store_kernelILj1024ELj4ELj32ELN6hipcub18WarpStoreAlgorithmE0EiEvPT3_S3_
	.p2align	8
	.type	_Z17warp_store_kernelILj1024ELj4ELj32ELN6hipcub18WarpStoreAlgorithmE0EiEvPT3_S3_,@function
_Z17warp_store_kernelILj1024ELj4ELj32ELN6hipcub18WarpStoreAlgorithmE0EiEvPT3_S3_: ; @_Z17warp_store_kernelILj1024ELj4ELj32ELN6hipcub18WarpStoreAlgorithmE0EiEvPT3_S3_
; %bb.0:
	s_load_dwordx4 s[0:3], s[4:5], 0x0
	v_lshlrev_b32_e32 v4, 4, v0
	v_mbcnt_lo_u32_b32 v5, -1, 0
	v_mbcnt_hi_u32_b32 v5, -1, v5
	v_lshlrev_b32_e32 v5, 4, v5
	s_waitcnt lgkmcnt(0)
	global_load_dwordx4 v[0:3], v4, s[0:1]
	v_and_b32_e32 v4, 0x3e00, v4
	v_mov_b32_e32 v6, s3
	v_add_co_u32_e32 v4, vcc, s2, v4
	v_addc_co_u32_e32 v6, vcc, 0, v6, vcc
	v_and_b32_e32 v5, 0x1f0, v5
	v_add_co_u32_e32 v4, vcc, v4, v5
	v_addc_co_u32_e32 v5, vcc, 0, v6, vcc
	s_waitcnt vmcnt(0)
	global_store_dwordx4 v[4:5], v[0:3], off
	s_endpgm
	.section	.rodata,"a",@progbits
	.p2align	6, 0x0
	.amdhsa_kernel _Z17warp_store_kernelILj1024ELj4ELj32ELN6hipcub18WarpStoreAlgorithmE0EiEvPT3_S3_
		.amdhsa_group_segment_fixed_size 0
		.amdhsa_private_segment_fixed_size 0
		.amdhsa_kernarg_size 16
		.amdhsa_user_sgpr_count 6
		.amdhsa_user_sgpr_private_segment_buffer 1
		.amdhsa_user_sgpr_dispatch_ptr 0
		.amdhsa_user_sgpr_queue_ptr 0
		.amdhsa_user_sgpr_kernarg_segment_ptr 1
		.amdhsa_user_sgpr_dispatch_id 0
		.amdhsa_user_sgpr_flat_scratch_init 0
		.amdhsa_user_sgpr_private_segment_size 0
		.amdhsa_uses_dynamic_stack 0
		.amdhsa_system_sgpr_private_segment_wavefront_offset 0
		.amdhsa_system_sgpr_workgroup_id_x 1
		.amdhsa_system_sgpr_workgroup_id_y 0
		.amdhsa_system_sgpr_workgroup_id_z 0
		.amdhsa_system_sgpr_workgroup_info 0
		.amdhsa_system_vgpr_workitem_id 0
		.amdhsa_next_free_vgpr 7
		.amdhsa_next_free_sgpr 6
		.amdhsa_reserve_vcc 1
		.amdhsa_reserve_flat_scratch 0
		.amdhsa_float_round_mode_32 0
		.amdhsa_float_round_mode_16_64 0
		.amdhsa_float_denorm_mode_32 3
		.amdhsa_float_denorm_mode_16_64 3
		.amdhsa_dx10_clamp 1
		.amdhsa_ieee_mode 1
		.amdhsa_fp16_overflow 0
		.amdhsa_exception_fp_ieee_invalid_op 0
		.amdhsa_exception_fp_denorm_src 0
		.amdhsa_exception_fp_ieee_div_zero 0
		.amdhsa_exception_fp_ieee_overflow 0
		.amdhsa_exception_fp_ieee_underflow 0
		.amdhsa_exception_fp_ieee_inexact 0
		.amdhsa_exception_int_div_zero 0
	.end_amdhsa_kernel
	.section	.text._Z17warp_store_kernelILj1024ELj4ELj32ELN6hipcub18WarpStoreAlgorithmE0EiEvPT3_S3_,"axG",@progbits,_Z17warp_store_kernelILj1024ELj4ELj32ELN6hipcub18WarpStoreAlgorithmE0EiEvPT3_S3_,comdat
.Lfunc_end7:
	.size	_Z17warp_store_kernelILj1024ELj4ELj32ELN6hipcub18WarpStoreAlgorithmE0EiEvPT3_S3_, .Lfunc_end7-_Z17warp_store_kernelILj1024ELj4ELj32ELN6hipcub18WarpStoreAlgorithmE0EiEvPT3_S3_
                                        ; -- End function
	.set _Z17warp_store_kernelILj1024ELj4ELj32ELN6hipcub18WarpStoreAlgorithmE0EiEvPT3_S3_.num_vgpr, 7
	.set _Z17warp_store_kernelILj1024ELj4ELj32ELN6hipcub18WarpStoreAlgorithmE0EiEvPT3_S3_.num_agpr, 0
	.set _Z17warp_store_kernelILj1024ELj4ELj32ELN6hipcub18WarpStoreAlgorithmE0EiEvPT3_S3_.numbered_sgpr, 6
	.set _Z17warp_store_kernelILj1024ELj4ELj32ELN6hipcub18WarpStoreAlgorithmE0EiEvPT3_S3_.num_named_barrier, 0
	.set _Z17warp_store_kernelILj1024ELj4ELj32ELN6hipcub18WarpStoreAlgorithmE0EiEvPT3_S3_.private_seg_size, 0
	.set _Z17warp_store_kernelILj1024ELj4ELj32ELN6hipcub18WarpStoreAlgorithmE0EiEvPT3_S3_.uses_vcc, 1
	.set _Z17warp_store_kernelILj1024ELj4ELj32ELN6hipcub18WarpStoreAlgorithmE0EiEvPT3_S3_.uses_flat_scratch, 0
	.set _Z17warp_store_kernelILj1024ELj4ELj32ELN6hipcub18WarpStoreAlgorithmE0EiEvPT3_S3_.has_dyn_sized_stack, 0
	.set _Z17warp_store_kernelILj1024ELj4ELj32ELN6hipcub18WarpStoreAlgorithmE0EiEvPT3_S3_.has_recursion, 0
	.set _Z17warp_store_kernelILj1024ELj4ELj32ELN6hipcub18WarpStoreAlgorithmE0EiEvPT3_S3_.has_indirect_call, 0
	.section	.AMDGPU.csdata,"",@progbits
; Kernel info:
; codeLenInByte = 96
; TotalNumSgprs: 10
; NumVgprs: 7
; ScratchSize: 0
; MemoryBound: 0
; FloatMode: 240
; IeeeMode: 1
; LDSByteSize: 0 bytes/workgroup (compile time only)
; SGPRBlocks: 1
; VGPRBlocks: 1
; NumSGPRsForWavesPerEU: 10
; NumVGPRsForWavesPerEU: 7
; Occupancy: 10
; WaveLimiterHint : 0
; COMPUTE_PGM_RSRC2:SCRATCH_EN: 0
; COMPUTE_PGM_RSRC2:USER_SGPR: 6
; COMPUTE_PGM_RSRC2:TRAP_HANDLER: 0
; COMPUTE_PGM_RSRC2:TGID_X_EN: 1
; COMPUTE_PGM_RSRC2:TGID_Y_EN: 0
; COMPUTE_PGM_RSRC2:TGID_Z_EN: 0
; COMPUTE_PGM_RSRC2:TIDIG_COMP_CNT: 0
	.section	.text._Z17warp_store_kernelILj1024ELj4ELj16ELN6hipcub18WarpStoreAlgorithmE3EiEvPT3_S3_,"axG",@progbits,_Z17warp_store_kernelILj1024ELj4ELj16ELN6hipcub18WarpStoreAlgorithmE3EiEvPT3_S3_,comdat
	.protected	_Z17warp_store_kernelILj1024ELj4ELj16ELN6hipcub18WarpStoreAlgorithmE3EiEvPT3_S3_ ; -- Begin function _Z17warp_store_kernelILj1024ELj4ELj16ELN6hipcub18WarpStoreAlgorithmE3EiEvPT3_S3_
	.globl	_Z17warp_store_kernelILj1024ELj4ELj16ELN6hipcub18WarpStoreAlgorithmE3EiEvPT3_S3_
	.p2align	8
	.type	_Z17warp_store_kernelILj1024ELj4ELj16ELN6hipcub18WarpStoreAlgorithmE3EiEvPT3_S3_,@function
_Z17warp_store_kernelILj1024ELj4ELj16ELN6hipcub18WarpStoreAlgorithmE3EiEvPT3_S3_: ; @_Z17warp_store_kernelILj1024ELj4ELj16ELN6hipcub18WarpStoreAlgorithmE3EiEvPT3_S3_
; %bb.0:
	s_load_dwordx4 s[0:3], s[4:5], 0x0
	v_lshlrev_b32_e32 v4, 4, v0
	v_mbcnt_lo_u32_b32 v5, -1, 0
	v_mbcnt_hi_u32_b32 v5, -1, v5
	v_and_b32_e32 v5, 15, v5
	s_waitcnt lgkmcnt(0)
	global_load_dwordx4 v[0:3], v4, s[0:1]
	v_and_b32_e32 v4, 0x3f00, v4
	v_lshl_or_b32 v6, v5, 4, v4
	v_lshlrev_b32_e32 v7, 2, v5
	v_mad_i32_i24 v5, v5, -12, v6
	v_mov_b32_e32 v8, s3
	v_add_co_u32_e32 v4, vcc, s2, v4
	v_addc_co_u32_e32 v8, vcc, 0, v8, vcc
	v_add_co_u32_e32 v4, vcc, v4, v7
	s_waitcnt vmcnt(0)
	ds_write_b128 v6, v[0:3]
	; wave barrier
	ds_read2_b32 v[0:1], v5 offset1:16
	ds_read2_b32 v[2:3], v5 offset0:32 offset1:48
	v_addc_co_u32_e32 v5, vcc, 0, v8, vcc
	s_waitcnt lgkmcnt(1)
	global_store_dword v[4:5], v0, off
	global_store_dword v[4:5], v1, off offset:64
	s_waitcnt lgkmcnt(0)
	global_store_dword v[4:5], v2, off offset:128
	global_store_dword v[4:5], v3, off offset:192
	s_endpgm
	.section	.rodata,"a",@progbits
	.p2align	6, 0x0
	.amdhsa_kernel _Z17warp_store_kernelILj1024ELj4ELj16ELN6hipcub18WarpStoreAlgorithmE3EiEvPT3_S3_
		.amdhsa_group_segment_fixed_size 16384
		.amdhsa_private_segment_fixed_size 0
		.amdhsa_kernarg_size 16
		.amdhsa_user_sgpr_count 6
		.amdhsa_user_sgpr_private_segment_buffer 1
		.amdhsa_user_sgpr_dispatch_ptr 0
		.amdhsa_user_sgpr_queue_ptr 0
		.amdhsa_user_sgpr_kernarg_segment_ptr 1
		.amdhsa_user_sgpr_dispatch_id 0
		.amdhsa_user_sgpr_flat_scratch_init 0
		.amdhsa_user_sgpr_private_segment_size 0
		.amdhsa_uses_dynamic_stack 0
		.amdhsa_system_sgpr_private_segment_wavefront_offset 0
		.amdhsa_system_sgpr_workgroup_id_x 1
		.amdhsa_system_sgpr_workgroup_id_y 0
		.amdhsa_system_sgpr_workgroup_id_z 0
		.amdhsa_system_sgpr_workgroup_info 0
		.amdhsa_system_vgpr_workitem_id 0
		.amdhsa_next_free_vgpr 29
		.amdhsa_next_free_sgpr 61
		.amdhsa_reserve_vcc 1
		.amdhsa_reserve_flat_scratch 0
		.amdhsa_float_round_mode_32 0
		.amdhsa_float_round_mode_16_64 0
		.amdhsa_float_denorm_mode_32 3
		.amdhsa_float_denorm_mode_16_64 3
		.amdhsa_dx10_clamp 1
		.amdhsa_ieee_mode 1
		.amdhsa_fp16_overflow 0
		.amdhsa_exception_fp_ieee_invalid_op 0
		.amdhsa_exception_fp_denorm_src 0
		.amdhsa_exception_fp_ieee_div_zero 0
		.amdhsa_exception_fp_ieee_overflow 0
		.amdhsa_exception_fp_ieee_underflow 0
		.amdhsa_exception_fp_ieee_inexact 0
		.amdhsa_exception_int_div_zero 0
	.end_amdhsa_kernel
	.section	.text._Z17warp_store_kernelILj1024ELj4ELj16ELN6hipcub18WarpStoreAlgorithmE3EiEvPT3_S3_,"axG",@progbits,_Z17warp_store_kernelILj1024ELj4ELj16ELN6hipcub18WarpStoreAlgorithmE3EiEvPT3_S3_,comdat
.Lfunc_end8:
	.size	_Z17warp_store_kernelILj1024ELj4ELj16ELN6hipcub18WarpStoreAlgorithmE3EiEvPT3_S3_, .Lfunc_end8-_Z17warp_store_kernelILj1024ELj4ELj16ELN6hipcub18WarpStoreAlgorithmE3EiEvPT3_S3_
                                        ; -- End function
	.set _Z17warp_store_kernelILj1024ELj4ELj16ELN6hipcub18WarpStoreAlgorithmE3EiEvPT3_S3_.num_vgpr, 9
	.set _Z17warp_store_kernelILj1024ELj4ELj16ELN6hipcub18WarpStoreAlgorithmE3EiEvPT3_S3_.num_agpr, 0
	.set _Z17warp_store_kernelILj1024ELj4ELj16ELN6hipcub18WarpStoreAlgorithmE3EiEvPT3_S3_.numbered_sgpr, 6
	.set _Z17warp_store_kernelILj1024ELj4ELj16ELN6hipcub18WarpStoreAlgorithmE3EiEvPT3_S3_.num_named_barrier, 0
	.set _Z17warp_store_kernelILj1024ELj4ELj16ELN6hipcub18WarpStoreAlgorithmE3EiEvPT3_S3_.private_seg_size, 0
	.set _Z17warp_store_kernelILj1024ELj4ELj16ELN6hipcub18WarpStoreAlgorithmE3EiEvPT3_S3_.uses_vcc, 1
	.set _Z17warp_store_kernelILj1024ELj4ELj16ELN6hipcub18WarpStoreAlgorithmE3EiEvPT3_S3_.uses_flat_scratch, 0
	.set _Z17warp_store_kernelILj1024ELj4ELj16ELN6hipcub18WarpStoreAlgorithmE3EiEvPT3_S3_.has_dyn_sized_stack, 0
	.set _Z17warp_store_kernelILj1024ELj4ELj16ELN6hipcub18WarpStoreAlgorithmE3EiEvPT3_S3_.has_recursion, 0
	.set _Z17warp_store_kernelILj1024ELj4ELj16ELN6hipcub18WarpStoreAlgorithmE3EiEvPT3_S3_.has_indirect_call, 0
	.section	.AMDGPU.csdata,"",@progbits
; Kernel info:
; codeLenInByte = 164
; TotalNumSgprs: 10
; NumVgprs: 9
; ScratchSize: 0
; MemoryBound: 0
; FloatMode: 240
; IeeeMode: 1
; LDSByteSize: 16384 bytes/workgroup (compile time only)
; SGPRBlocks: 8
; VGPRBlocks: 7
; NumSGPRsForWavesPerEU: 65
; NumVGPRsForWavesPerEU: 29
; Occupancy: 8
; WaveLimiterHint : 0
; COMPUTE_PGM_RSRC2:SCRATCH_EN: 0
; COMPUTE_PGM_RSRC2:USER_SGPR: 6
; COMPUTE_PGM_RSRC2:TRAP_HANDLER: 0
; COMPUTE_PGM_RSRC2:TGID_X_EN: 1
; COMPUTE_PGM_RSRC2:TGID_Y_EN: 0
; COMPUTE_PGM_RSRC2:TGID_Z_EN: 0
; COMPUTE_PGM_RSRC2:TIDIG_COMP_CNT: 0
	.section	.text._Z17warp_store_kernelILj1024ELj4ELj16ELN6hipcub18WarpStoreAlgorithmE2EiEvPT3_S3_,"axG",@progbits,_Z17warp_store_kernelILj1024ELj4ELj16ELN6hipcub18WarpStoreAlgorithmE2EiEvPT3_S3_,comdat
	.protected	_Z17warp_store_kernelILj1024ELj4ELj16ELN6hipcub18WarpStoreAlgorithmE2EiEvPT3_S3_ ; -- Begin function _Z17warp_store_kernelILj1024ELj4ELj16ELN6hipcub18WarpStoreAlgorithmE2EiEvPT3_S3_
	.globl	_Z17warp_store_kernelILj1024ELj4ELj16ELN6hipcub18WarpStoreAlgorithmE2EiEvPT3_S3_
	.p2align	8
	.type	_Z17warp_store_kernelILj1024ELj4ELj16ELN6hipcub18WarpStoreAlgorithmE2EiEvPT3_S3_,@function
_Z17warp_store_kernelILj1024ELj4ELj16ELN6hipcub18WarpStoreAlgorithmE2EiEvPT3_S3_: ; @_Z17warp_store_kernelILj1024ELj4ELj16ELN6hipcub18WarpStoreAlgorithmE2EiEvPT3_S3_
; %bb.0:
	s_load_dwordx4 s[0:3], s[4:5], 0x0
	v_lshlrev_b32_e32 v4, 4, v0
	v_mbcnt_lo_u32_b32 v5, -1, 0
	v_mbcnt_hi_u32_b32 v5, -1, v5
	v_and_b32_e32 v5, 15, v5
	s_waitcnt lgkmcnt(0)
	global_load_dwordx4 v[0:3], v4, s[0:1]
	v_and_b32_e32 v4, 0x3f00, v4
	v_mov_b32_e32 v6, s3
	v_add_co_u32_e32 v4, vcc, s2, v4
	v_addc_co_u32_e32 v6, vcc, 0, v6, vcc
	v_lshlrev_b32_e32 v5, 4, v5
	v_add_co_u32_e32 v4, vcc, v4, v5
	v_addc_co_u32_e32 v5, vcc, 0, v6, vcc
	s_waitcnt vmcnt(0)
	global_store_dwordx4 v[4:5], v[0:3], off
	s_endpgm
	.section	.rodata,"a",@progbits
	.p2align	6, 0x0
	.amdhsa_kernel _Z17warp_store_kernelILj1024ELj4ELj16ELN6hipcub18WarpStoreAlgorithmE2EiEvPT3_S3_
		.amdhsa_group_segment_fixed_size 0
		.amdhsa_private_segment_fixed_size 0
		.amdhsa_kernarg_size 16
		.amdhsa_user_sgpr_count 6
		.amdhsa_user_sgpr_private_segment_buffer 1
		.amdhsa_user_sgpr_dispatch_ptr 0
		.amdhsa_user_sgpr_queue_ptr 0
		.amdhsa_user_sgpr_kernarg_segment_ptr 1
		.amdhsa_user_sgpr_dispatch_id 0
		.amdhsa_user_sgpr_flat_scratch_init 0
		.amdhsa_user_sgpr_private_segment_size 0
		.amdhsa_uses_dynamic_stack 0
		.amdhsa_system_sgpr_private_segment_wavefront_offset 0
		.amdhsa_system_sgpr_workgroup_id_x 1
		.amdhsa_system_sgpr_workgroup_id_y 0
		.amdhsa_system_sgpr_workgroup_id_z 0
		.amdhsa_system_sgpr_workgroup_info 0
		.amdhsa_system_vgpr_workitem_id 0
		.amdhsa_next_free_vgpr 7
		.amdhsa_next_free_sgpr 6
		.amdhsa_reserve_vcc 1
		.amdhsa_reserve_flat_scratch 0
		.amdhsa_float_round_mode_32 0
		.amdhsa_float_round_mode_16_64 0
		.amdhsa_float_denorm_mode_32 3
		.amdhsa_float_denorm_mode_16_64 3
		.amdhsa_dx10_clamp 1
		.amdhsa_ieee_mode 1
		.amdhsa_fp16_overflow 0
		.amdhsa_exception_fp_ieee_invalid_op 0
		.amdhsa_exception_fp_denorm_src 0
		.amdhsa_exception_fp_ieee_div_zero 0
		.amdhsa_exception_fp_ieee_overflow 0
		.amdhsa_exception_fp_ieee_underflow 0
		.amdhsa_exception_fp_ieee_inexact 0
		.amdhsa_exception_int_div_zero 0
	.end_amdhsa_kernel
	.section	.text._Z17warp_store_kernelILj1024ELj4ELj16ELN6hipcub18WarpStoreAlgorithmE2EiEvPT3_S3_,"axG",@progbits,_Z17warp_store_kernelILj1024ELj4ELj16ELN6hipcub18WarpStoreAlgorithmE2EiEvPT3_S3_,comdat
.Lfunc_end9:
	.size	_Z17warp_store_kernelILj1024ELj4ELj16ELN6hipcub18WarpStoreAlgorithmE2EiEvPT3_S3_, .Lfunc_end9-_Z17warp_store_kernelILj1024ELj4ELj16ELN6hipcub18WarpStoreAlgorithmE2EiEvPT3_S3_
                                        ; -- End function
	.set _Z17warp_store_kernelILj1024ELj4ELj16ELN6hipcub18WarpStoreAlgorithmE2EiEvPT3_S3_.num_vgpr, 7
	.set _Z17warp_store_kernelILj1024ELj4ELj16ELN6hipcub18WarpStoreAlgorithmE2EiEvPT3_S3_.num_agpr, 0
	.set _Z17warp_store_kernelILj1024ELj4ELj16ELN6hipcub18WarpStoreAlgorithmE2EiEvPT3_S3_.numbered_sgpr, 6
	.set _Z17warp_store_kernelILj1024ELj4ELj16ELN6hipcub18WarpStoreAlgorithmE2EiEvPT3_S3_.num_named_barrier, 0
	.set _Z17warp_store_kernelILj1024ELj4ELj16ELN6hipcub18WarpStoreAlgorithmE2EiEvPT3_S3_.private_seg_size, 0
	.set _Z17warp_store_kernelILj1024ELj4ELj16ELN6hipcub18WarpStoreAlgorithmE2EiEvPT3_S3_.uses_vcc, 1
	.set _Z17warp_store_kernelILj1024ELj4ELj16ELN6hipcub18WarpStoreAlgorithmE2EiEvPT3_S3_.uses_flat_scratch, 0
	.set _Z17warp_store_kernelILj1024ELj4ELj16ELN6hipcub18WarpStoreAlgorithmE2EiEvPT3_S3_.has_dyn_sized_stack, 0
	.set _Z17warp_store_kernelILj1024ELj4ELj16ELN6hipcub18WarpStoreAlgorithmE2EiEvPT3_S3_.has_recursion, 0
	.set _Z17warp_store_kernelILj1024ELj4ELj16ELN6hipcub18WarpStoreAlgorithmE2EiEvPT3_S3_.has_indirect_call, 0
	.section	.AMDGPU.csdata,"",@progbits
; Kernel info:
; codeLenInByte = 92
; TotalNumSgprs: 10
; NumVgprs: 7
; ScratchSize: 0
; MemoryBound: 0
; FloatMode: 240
; IeeeMode: 1
; LDSByteSize: 0 bytes/workgroup (compile time only)
; SGPRBlocks: 1
; VGPRBlocks: 1
; NumSGPRsForWavesPerEU: 10
; NumVGPRsForWavesPerEU: 7
; Occupancy: 10
; WaveLimiterHint : 0
; COMPUTE_PGM_RSRC2:SCRATCH_EN: 0
; COMPUTE_PGM_RSRC2:USER_SGPR: 6
; COMPUTE_PGM_RSRC2:TRAP_HANDLER: 0
; COMPUTE_PGM_RSRC2:TGID_X_EN: 1
; COMPUTE_PGM_RSRC2:TGID_Y_EN: 0
; COMPUTE_PGM_RSRC2:TGID_Z_EN: 0
; COMPUTE_PGM_RSRC2:TIDIG_COMP_CNT: 0
	.section	.text._Z17warp_store_kernelILj1024ELj4ELj16ELN6hipcub18WarpStoreAlgorithmE1EiEvPT3_S3_,"axG",@progbits,_Z17warp_store_kernelILj1024ELj4ELj16ELN6hipcub18WarpStoreAlgorithmE1EiEvPT3_S3_,comdat
	.protected	_Z17warp_store_kernelILj1024ELj4ELj16ELN6hipcub18WarpStoreAlgorithmE1EiEvPT3_S3_ ; -- Begin function _Z17warp_store_kernelILj1024ELj4ELj16ELN6hipcub18WarpStoreAlgorithmE1EiEvPT3_S3_
	.globl	_Z17warp_store_kernelILj1024ELj4ELj16ELN6hipcub18WarpStoreAlgorithmE1EiEvPT3_S3_
	.p2align	8
	.type	_Z17warp_store_kernelILj1024ELj4ELj16ELN6hipcub18WarpStoreAlgorithmE1EiEvPT3_S3_,@function
_Z17warp_store_kernelILj1024ELj4ELj16ELN6hipcub18WarpStoreAlgorithmE1EiEvPT3_S3_: ; @_Z17warp_store_kernelILj1024ELj4ELj16ELN6hipcub18WarpStoreAlgorithmE1EiEvPT3_S3_
; %bb.0:
	s_load_dwordx4 s[0:3], s[4:5], 0x0
	v_lshlrev_b32_e32 v4, 4, v0
	v_mbcnt_lo_u32_b32 v5, -1, 0
	v_mbcnt_hi_u32_b32 v5, -1, v5
	v_and_b32_e32 v5, 15, v5
	s_waitcnt lgkmcnt(0)
	global_load_dwordx4 v[0:3], v4, s[0:1]
	v_and_b32_e32 v4, 0x3f00, v4
	v_mov_b32_e32 v6, s3
	v_add_co_u32_e32 v4, vcc, s2, v4
	v_lshlrev_b32_e32 v5, 2, v5
	v_addc_co_u32_e32 v6, vcc, 0, v6, vcc
	v_add_co_u32_e32 v4, vcc, v4, v5
	v_addc_co_u32_e32 v5, vcc, 0, v6, vcc
	s_waitcnt vmcnt(0)
	global_store_dword v[4:5], v0, off
	global_store_dword v[4:5], v1, off offset:64
	global_store_dword v[4:5], v2, off offset:128
	;; [unrolled: 1-line block ×3, first 2 shown]
	s_endpgm
	.section	.rodata,"a",@progbits
	.p2align	6, 0x0
	.amdhsa_kernel _Z17warp_store_kernelILj1024ELj4ELj16ELN6hipcub18WarpStoreAlgorithmE1EiEvPT3_S3_
		.amdhsa_group_segment_fixed_size 0
		.amdhsa_private_segment_fixed_size 0
		.amdhsa_kernarg_size 16
		.amdhsa_user_sgpr_count 6
		.amdhsa_user_sgpr_private_segment_buffer 1
		.amdhsa_user_sgpr_dispatch_ptr 0
		.amdhsa_user_sgpr_queue_ptr 0
		.amdhsa_user_sgpr_kernarg_segment_ptr 1
		.amdhsa_user_sgpr_dispatch_id 0
		.amdhsa_user_sgpr_flat_scratch_init 0
		.amdhsa_user_sgpr_private_segment_size 0
		.amdhsa_uses_dynamic_stack 0
		.amdhsa_system_sgpr_private_segment_wavefront_offset 0
		.amdhsa_system_sgpr_workgroup_id_x 1
		.amdhsa_system_sgpr_workgroup_id_y 0
		.amdhsa_system_sgpr_workgroup_id_z 0
		.amdhsa_system_sgpr_workgroup_info 0
		.amdhsa_system_vgpr_workitem_id 0
		.amdhsa_next_free_vgpr 7
		.amdhsa_next_free_sgpr 6
		.amdhsa_reserve_vcc 1
		.amdhsa_reserve_flat_scratch 0
		.amdhsa_float_round_mode_32 0
		.amdhsa_float_round_mode_16_64 0
		.amdhsa_float_denorm_mode_32 3
		.amdhsa_float_denorm_mode_16_64 3
		.amdhsa_dx10_clamp 1
		.amdhsa_ieee_mode 1
		.amdhsa_fp16_overflow 0
		.amdhsa_exception_fp_ieee_invalid_op 0
		.amdhsa_exception_fp_denorm_src 0
		.amdhsa_exception_fp_ieee_div_zero 0
		.amdhsa_exception_fp_ieee_overflow 0
		.amdhsa_exception_fp_ieee_underflow 0
		.amdhsa_exception_fp_ieee_inexact 0
		.amdhsa_exception_int_div_zero 0
	.end_amdhsa_kernel
	.section	.text._Z17warp_store_kernelILj1024ELj4ELj16ELN6hipcub18WarpStoreAlgorithmE1EiEvPT3_S3_,"axG",@progbits,_Z17warp_store_kernelILj1024ELj4ELj16ELN6hipcub18WarpStoreAlgorithmE1EiEvPT3_S3_,comdat
.Lfunc_end10:
	.size	_Z17warp_store_kernelILj1024ELj4ELj16ELN6hipcub18WarpStoreAlgorithmE1EiEvPT3_S3_, .Lfunc_end10-_Z17warp_store_kernelILj1024ELj4ELj16ELN6hipcub18WarpStoreAlgorithmE1EiEvPT3_S3_
                                        ; -- End function
	.set _Z17warp_store_kernelILj1024ELj4ELj16ELN6hipcub18WarpStoreAlgorithmE1EiEvPT3_S3_.num_vgpr, 7
	.set _Z17warp_store_kernelILj1024ELj4ELj16ELN6hipcub18WarpStoreAlgorithmE1EiEvPT3_S3_.num_agpr, 0
	.set _Z17warp_store_kernelILj1024ELj4ELj16ELN6hipcub18WarpStoreAlgorithmE1EiEvPT3_S3_.numbered_sgpr, 6
	.set _Z17warp_store_kernelILj1024ELj4ELj16ELN6hipcub18WarpStoreAlgorithmE1EiEvPT3_S3_.num_named_barrier, 0
	.set _Z17warp_store_kernelILj1024ELj4ELj16ELN6hipcub18WarpStoreAlgorithmE1EiEvPT3_S3_.private_seg_size, 0
	.set _Z17warp_store_kernelILj1024ELj4ELj16ELN6hipcub18WarpStoreAlgorithmE1EiEvPT3_S3_.uses_vcc, 1
	.set _Z17warp_store_kernelILj1024ELj4ELj16ELN6hipcub18WarpStoreAlgorithmE1EiEvPT3_S3_.uses_flat_scratch, 0
	.set _Z17warp_store_kernelILj1024ELj4ELj16ELN6hipcub18WarpStoreAlgorithmE1EiEvPT3_S3_.has_dyn_sized_stack, 0
	.set _Z17warp_store_kernelILj1024ELj4ELj16ELN6hipcub18WarpStoreAlgorithmE1EiEvPT3_S3_.has_recursion, 0
	.set _Z17warp_store_kernelILj1024ELj4ELj16ELN6hipcub18WarpStoreAlgorithmE1EiEvPT3_S3_.has_indirect_call, 0
	.section	.AMDGPU.csdata,"",@progbits
; Kernel info:
; codeLenInByte = 116
; TotalNumSgprs: 10
; NumVgprs: 7
; ScratchSize: 0
; MemoryBound: 0
; FloatMode: 240
; IeeeMode: 1
; LDSByteSize: 0 bytes/workgroup (compile time only)
; SGPRBlocks: 1
; VGPRBlocks: 1
; NumSGPRsForWavesPerEU: 10
; NumVGPRsForWavesPerEU: 7
; Occupancy: 10
; WaveLimiterHint : 0
; COMPUTE_PGM_RSRC2:SCRATCH_EN: 0
; COMPUTE_PGM_RSRC2:USER_SGPR: 6
; COMPUTE_PGM_RSRC2:TRAP_HANDLER: 0
; COMPUTE_PGM_RSRC2:TGID_X_EN: 1
; COMPUTE_PGM_RSRC2:TGID_Y_EN: 0
; COMPUTE_PGM_RSRC2:TGID_Z_EN: 0
; COMPUTE_PGM_RSRC2:TIDIG_COMP_CNT: 0
	.section	.text._Z17warp_store_kernelILj1024ELj4ELj16ELN6hipcub18WarpStoreAlgorithmE0EiEvPT3_S3_,"axG",@progbits,_Z17warp_store_kernelILj1024ELj4ELj16ELN6hipcub18WarpStoreAlgorithmE0EiEvPT3_S3_,comdat
	.protected	_Z17warp_store_kernelILj1024ELj4ELj16ELN6hipcub18WarpStoreAlgorithmE0EiEvPT3_S3_ ; -- Begin function _Z17warp_store_kernelILj1024ELj4ELj16ELN6hipcub18WarpStoreAlgorithmE0EiEvPT3_S3_
	.globl	_Z17warp_store_kernelILj1024ELj4ELj16ELN6hipcub18WarpStoreAlgorithmE0EiEvPT3_S3_
	.p2align	8
	.type	_Z17warp_store_kernelILj1024ELj4ELj16ELN6hipcub18WarpStoreAlgorithmE0EiEvPT3_S3_,@function
_Z17warp_store_kernelILj1024ELj4ELj16ELN6hipcub18WarpStoreAlgorithmE0EiEvPT3_S3_: ; @_Z17warp_store_kernelILj1024ELj4ELj16ELN6hipcub18WarpStoreAlgorithmE0EiEvPT3_S3_
; %bb.0:
	s_load_dwordx4 s[0:3], s[4:5], 0x0
	v_lshlrev_b32_e32 v4, 4, v0
	v_mbcnt_lo_u32_b32 v5, -1, 0
	v_mbcnt_hi_u32_b32 v5, -1, v5
	v_lshlrev_b32_e32 v5, 4, v5
	s_waitcnt lgkmcnt(0)
	global_load_dwordx4 v[0:3], v4, s[0:1]
	v_and_b32_e32 v4, 0x3f00, v4
	v_mov_b32_e32 v6, s3
	v_add_co_u32_e32 v4, vcc, s2, v4
	v_addc_co_u32_e32 v6, vcc, 0, v6, vcc
	v_and_b32_e32 v5, 0xf0, v5
	v_add_co_u32_e32 v4, vcc, v4, v5
	v_addc_co_u32_e32 v5, vcc, 0, v6, vcc
	s_waitcnt vmcnt(0)
	global_store_dwordx4 v[4:5], v[0:3], off
	s_endpgm
	.section	.rodata,"a",@progbits
	.p2align	6, 0x0
	.amdhsa_kernel _Z17warp_store_kernelILj1024ELj4ELj16ELN6hipcub18WarpStoreAlgorithmE0EiEvPT3_S3_
		.amdhsa_group_segment_fixed_size 0
		.amdhsa_private_segment_fixed_size 0
		.amdhsa_kernarg_size 16
		.amdhsa_user_sgpr_count 6
		.amdhsa_user_sgpr_private_segment_buffer 1
		.amdhsa_user_sgpr_dispatch_ptr 0
		.amdhsa_user_sgpr_queue_ptr 0
		.amdhsa_user_sgpr_kernarg_segment_ptr 1
		.amdhsa_user_sgpr_dispatch_id 0
		.amdhsa_user_sgpr_flat_scratch_init 0
		.amdhsa_user_sgpr_private_segment_size 0
		.amdhsa_uses_dynamic_stack 0
		.amdhsa_system_sgpr_private_segment_wavefront_offset 0
		.amdhsa_system_sgpr_workgroup_id_x 1
		.amdhsa_system_sgpr_workgroup_id_y 0
		.amdhsa_system_sgpr_workgroup_id_z 0
		.amdhsa_system_sgpr_workgroup_info 0
		.amdhsa_system_vgpr_workitem_id 0
		.amdhsa_next_free_vgpr 7
		.amdhsa_next_free_sgpr 6
		.amdhsa_reserve_vcc 1
		.amdhsa_reserve_flat_scratch 0
		.amdhsa_float_round_mode_32 0
		.amdhsa_float_round_mode_16_64 0
		.amdhsa_float_denorm_mode_32 3
		.amdhsa_float_denorm_mode_16_64 3
		.amdhsa_dx10_clamp 1
		.amdhsa_ieee_mode 1
		.amdhsa_fp16_overflow 0
		.amdhsa_exception_fp_ieee_invalid_op 0
		.amdhsa_exception_fp_denorm_src 0
		.amdhsa_exception_fp_ieee_div_zero 0
		.amdhsa_exception_fp_ieee_overflow 0
		.amdhsa_exception_fp_ieee_underflow 0
		.amdhsa_exception_fp_ieee_inexact 0
		.amdhsa_exception_int_div_zero 0
	.end_amdhsa_kernel
	.section	.text._Z17warp_store_kernelILj1024ELj4ELj16ELN6hipcub18WarpStoreAlgorithmE0EiEvPT3_S3_,"axG",@progbits,_Z17warp_store_kernelILj1024ELj4ELj16ELN6hipcub18WarpStoreAlgorithmE0EiEvPT3_S3_,comdat
.Lfunc_end11:
	.size	_Z17warp_store_kernelILj1024ELj4ELj16ELN6hipcub18WarpStoreAlgorithmE0EiEvPT3_S3_, .Lfunc_end11-_Z17warp_store_kernelILj1024ELj4ELj16ELN6hipcub18WarpStoreAlgorithmE0EiEvPT3_S3_
                                        ; -- End function
	.set _Z17warp_store_kernelILj1024ELj4ELj16ELN6hipcub18WarpStoreAlgorithmE0EiEvPT3_S3_.num_vgpr, 7
	.set _Z17warp_store_kernelILj1024ELj4ELj16ELN6hipcub18WarpStoreAlgorithmE0EiEvPT3_S3_.num_agpr, 0
	.set _Z17warp_store_kernelILj1024ELj4ELj16ELN6hipcub18WarpStoreAlgorithmE0EiEvPT3_S3_.numbered_sgpr, 6
	.set _Z17warp_store_kernelILj1024ELj4ELj16ELN6hipcub18WarpStoreAlgorithmE0EiEvPT3_S3_.num_named_barrier, 0
	.set _Z17warp_store_kernelILj1024ELj4ELj16ELN6hipcub18WarpStoreAlgorithmE0EiEvPT3_S3_.private_seg_size, 0
	.set _Z17warp_store_kernelILj1024ELj4ELj16ELN6hipcub18WarpStoreAlgorithmE0EiEvPT3_S3_.uses_vcc, 1
	.set _Z17warp_store_kernelILj1024ELj4ELj16ELN6hipcub18WarpStoreAlgorithmE0EiEvPT3_S3_.uses_flat_scratch, 0
	.set _Z17warp_store_kernelILj1024ELj4ELj16ELN6hipcub18WarpStoreAlgorithmE0EiEvPT3_S3_.has_dyn_sized_stack, 0
	.set _Z17warp_store_kernelILj1024ELj4ELj16ELN6hipcub18WarpStoreAlgorithmE0EiEvPT3_S3_.has_recursion, 0
	.set _Z17warp_store_kernelILj1024ELj4ELj16ELN6hipcub18WarpStoreAlgorithmE0EiEvPT3_S3_.has_indirect_call, 0
	.section	.AMDGPU.csdata,"",@progbits
; Kernel info:
; codeLenInByte = 96
; TotalNumSgprs: 10
; NumVgprs: 7
; ScratchSize: 0
; MemoryBound: 0
; FloatMode: 240
; IeeeMode: 1
; LDSByteSize: 0 bytes/workgroup (compile time only)
; SGPRBlocks: 1
; VGPRBlocks: 1
; NumSGPRsForWavesPerEU: 10
; NumVGPRsForWavesPerEU: 7
; Occupancy: 10
; WaveLimiterHint : 0
; COMPUTE_PGM_RSRC2:SCRATCH_EN: 0
; COMPUTE_PGM_RSRC2:USER_SGPR: 6
; COMPUTE_PGM_RSRC2:TRAP_HANDLER: 0
; COMPUTE_PGM_RSRC2:TGID_X_EN: 1
; COMPUTE_PGM_RSRC2:TGID_Y_EN: 0
; COMPUTE_PGM_RSRC2:TGID_Z_EN: 0
; COMPUTE_PGM_RSRC2:TIDIG_COMP_CNT: 0
	.section	.text._Z17warp_store_kernelILj1024ELj4ELj1ELN6hipcub18WarpStoreAlgorithmE3EiEvPT3_S3_,"axG",@progbits,_Z17warp_store_kernelILj1024ELj4ELj1ELN6hipcub18WarpStoreAlgorithmE3EiEvPT3_S3_,comdat
	.protected	_Z17warp_store_kernelILj1024ELj4ELj1ELN6hipcub18WarpStoreAlgorithmE3EiEvPT3_S3_ ; -- Begin function _Z17warp_store_kernelILj1024ELj4ELj1ELN6hipcub18WarpStoreAlgorithmE3EiEvPT3_S3_
	.globl	_Z17warp_store_kernelILj1024ELj4ELj1ELN6hipcub18WarpStoreAlgorithmE3EiEvPT3_S3_
	.p2align	8
	.type	_Z17warp_store_kernelILj1024ELj4ELj1ELN6hipcub18WarpStoreAlgorithmE3EiEvPT3_S3_,@function
_Z17warp_store_kernelILj1024ELj4ELj1ELN6hipcub18WarpStoreAlgorithmE3EiEvPT3_S3_: ; @_Z17warp_store_kernelILj1024ELj4ELj1ELN6hipcub18WarpStoreAlgorithmE3EiEvPT3_S3_
; %bb.0:
	s_load_dwordx4 s[0:3], s[4:5], 0x0
	v_lshlrev_b32_e32 v4, 4, v0
	s_waitcnt lgkmcnt(0)
	global_load_dwordx4 v[0:3], v4, s[0:1]
	s_waitcnt vmcnt(0)
	ds_write_b128 v4, v[0:3]
	; wave barrier
	ds_read_b128 v[0:3], v4
	s_waitcnt lgkmcnt(0)
	global_store_dwordx4 v4, v[0:3], s[2:3]
	s_endpgm
	.section	.rodata,"a",@progbits
	.p2align	6, 0x0
	.amdhsa_kernel _Z17warp_store_kernelILj1024ELj4ELj1ELN6hipcub18WarpStoreAlgorithmE3EiEvPT3_S3_
		.amdhsa_group_segment_fixed_size 16384
		.amdhsa_private_segment_fixed_size 0
		.amdhsa_kernarg_size 16
		.amdhsa_user_sgpr_count 6
		.amdhsa_user_sgpr_private_segment_buffer 1
		.amdhsa_user_sgpr_dispatch_ptr 0
		.amdhsa_user_sgpr_queue_ptr 0
		.amdhsa_user_sgpr_kernarg_segment_ptr 1
		.amdhsa_user_sgpr_dispatch_id 0
		.amdhsa_user_sgpr_flat_scratch_init 0
		.amdhsa_user_sgpr_private_segment_size 0
		.amdhsa_uses_dynamic_stack 0
		.amdhsa_system_sgpr_private_segment_wavefront_offset 0
		.amdhsa_system_sgpr_workgroup_id_x 1
		.amdhsa_system_sgpr_workgroup_id_y 0
		.amdhsa_system_sgpr_workgroup_id_z 0
		.amdhsa_system_sgpr_workgroup_info 0
		.amdhsa_system_vgpr_workitem_id 0
		.amdhsa_next_free_vgpr 29
		.amdhsa_next_free_sgpr 61
		.amdhsa_reserve_vcc 0
		.amdhsa_reserve_flat_scratch 0
		.amdhsa_float_round_mode_32 0
		.amdhsa_float_round_mode_16_64 0
		.amdhsa_float_denorm_mode_32 3
		.amdhsa_float_denorm_mode_16_64 3
		.amdhsa_dx10_clamp 1
		.amdhsa_ieee_mode 1
		.amdhsa_fp16_overflow 0
		.amdhsa_exception_fp_ieee_invalid_op 0
		.amdhsa_exception_fp_denorm_src 0
		.amdhsa_exception_fp_ieee_div_zero 0
		.amdhsa_exception_fp_ieee_overflow 0
		.amdhsa_exception_fp_ieee_underflow 0
		.amdhsa_exception_fp_ieee_inexact 0
		.amdhsa_exception_int_div_zero 0
	.end_amdhsa_kernel
	.section	.text._Z17warp_store_kernelILj1024ELj4ELj1ELN6hipcub18WarpStoreAlgorithmE3EiEvPT3_S3_,"axG",@progbits,_Z17warp_store_kernelILj1024ELj4ELj1ELN6hipcub18WarpStoreAlgorithmE3EiEvPT3_S3_,comdat
.Lfunc_end12:
	.size	_Z17warp_store_kernelILj1024ELj4ELj1ELN6hipcub18WarpStoreAlgorithmE3EiEvPT3_S3_, .Lfunc_end12-_Z17warp_store_kernelILj1024ELj4ELj1ELN6hipcub18WarpStoreAlgorithmE3EiEvPT3_S3_
                                        ; -- End function
	.set _Z17warp_store_kernelILj1024ELj4ELj1ELN6hipcub18WarpStoreAlgorithmE3EiEvPT3_S3_.num_vgpr, 5
	.set _Z17warp_store_kernelILj1024ELj4ELj1ELN6hipcub18WarpStoreAlgorithmE3EiEvPT3_S3_.num_agpr, 0
	.set _Z17warp_store_kernelILj1024ELj4ELj1ELN6hipcub18WarpStoreAlgorithmE3EiEvPT3_S3_.numbered_sgpr, 6
	.set _Z17warp_store_kernelILj1024ELj4ELj1ELN6hipcub18WarpStoreAlgorithmE3EiEvPT3_S3_.num_named_barrier, 0
	.set _Z17warp_store_kernelILj1024ELj4ELj1ELN6hipcub18WarpStoreAlgorithmE3EiEvPT3_S3_.private_seg_size, 0
	.set _Z17warp_store_kernelILj1024ELj4ELj1ELN6hipcub18WarpStoreAlgorithmE3EiEvPT3_S3_.uses_vcc, 0
	.set _Z17warp_store_kernelILj1024ELj4ELj1ELN6hipcub18WarpStoreAlgorithmE3EiEvPT3_S3_.uses_flat_scratch, 0
	.set _Z17warp_store_kernelILj1024ELj4ELj1ELN6hipcub18WarpStoreAlgorithmE3EiEvPT3_S3_.has_dyn_sized_stack, 0
	.set _Z17warp_store_kernelILj1024ELj4ELj1ELN6hipcub18WarpStoreAlgorithmE3EiEvPT3_S3_.has_recursion, 0
	.set _Z17warp_store_kernelILj1024ELj4ELj1ELN6hipcub18WarpStoreAlgorithmE3EiEvPT3_S3_.has_indirect_call, 0
	.section	.AMDGPU.csdata,"",@progbits
; Kernel info:
; codeLenInByte = 60
; TotalNumSgprs: 10
; NumVgprs: 5
; ScratchSize: 0
; MemoryBound: 0
; FloatMode: 240
; IeeeMode: 1
; LDSByteSize: 16384 bytes/workgroup (compile time only)
; SGPRBlocks: 8
; VGPRBlocks: 7
; NumSGPRsForWavesPerEU: 65
; NumVGPRsForWavesPerEU: 29
; Occupancy: 8
; WaveLimiterHint : 0
; COMPUTE_PGM_RSRC2:SCRATCH_EN: 0
; COMPUTE_PGM_RSRC2:USER_SGPR: 6
; COMPUTE_PGM_RSRC2:TRAP_HANDLER: 0
; COMPUTE_PGM_RSRC2:TGID_X_EN: 1
; COMPUTE_PGM_RSRC2:TGID_Y_EN: 0
; COMPUTE_PGM_RSRC2:TGID_Z_EN: 0
; COMPUTE_PGM_RSRC2:TIDIG_COMP_CNT: 0
	.section	.text._Z17warp_store_kernelILj1024ELj4ELj1ELN6hipcub18WarpStoreAlgorithmE2EiEvPT3_S3_,"axG",@progbits,_Z17warp_store_kernelILj1024ELj4ELj1ELN6hipcub18WarpStoreAlgorithmE2EiEvPT3_S3_,comdat
	.protected	_Z17warp_store_kernelILj1024ELj4ELj1ELN6hipcub18WarpStoreAlgorithmE2EiEvPT3_S3_ ; -- Begin function _Z17warp_store_kernelILj1024ELj4ELj1ELN6hipcub18WarpStoreAlgorithmE2EiEvPT3_S3_
	.globl	_Z17warp_store_kernelILj1024ELj4ELj1ELN6hipcub18WarpStoreAlgorithmE2EiEvPT3_S3_
	.p2align	8
	.type	_Z17warp_store_kernelILj1024ELj4ELj1ELN6hipcub18WarpStoreAlgorithmE2EiEvPT3_S3_,@function
_Z17warp_store_kernelILj1024ELj4ELj1ELN6hipcub18WarpStoreAlgorithmE2EiEvPT3_S3_: ; @_Z17warp_store_kernelILj1024ELj4ELj1ELN6hipcub18WarpStoreAlgorithmE2EiEvPT3_S3_
; %bb.0:
	s_load_dwordx4 s[0:3], s[4:5], 0x0
	v_lshlrev_b32_e32 v4, 4, v0
	s_waitcnt lgkmcnt(0)
	global_load_dwordx4 v[0:3], v4, s[0:1]
	s_waitcnt vmcnt(0)
	global_store_dwordx4 v4, v[0:3], s[2:3]
	s_endpgm
	.section	.rodata,"a",@progbits
	.p2align	6, 0x0
	.amdhsa_kernel _Z17warp_store_kernelILj1024ELj4ELj1ELN6hipcub18WarpStoreAlgorithmE2EiEvPT3_S3_
		.amdhsa_group_segment_fixed_size 0
		.amdhsa_private_segment_fixed_size 0
		.amdhsa_kernarg_size 16
		.amdhsa_user_sgpr_count 6
		.amdhsa_user_sgpr_private_segment_buffer 1
		.amdhsa_user_sgpr_dispatch_ptr 0
		.amdhsa_user_sgpr_queue_ptr 0
		.amdhsa_user_sgpr_kernarg_segment_ptr 1
		.amdhsa_user_sgpr_dispatch_id 0
		.amdhsa_user_sgpr_flat_scratch_init 0
		.amdhsa_user_sgpr_private_segment_size 0
		.amdhsa_uses_dynamic_stack 0
		.amdhsa_system_sgpr_private_segment_wavefront_offset 0
		.amdhsa_system_sgpr_workgroup_id_x 1
		.amdhsa_system_sgpr_workgroup_id_y 0
		.amdhsa_system_sgpr_workgroup_id_z 0
		.amdhsa_system_sgpr_workgroup_info 0
		.amdhsa_system_vgpr_workitem_id 0
		.amdhsa_next_free_vgpr 5
		.amdhsa_next_free_sgpr 6
		.amdhsa_reserve_vcc 0
		.amdhsa_reserve_flat_scratch 0
		.amdhsa_float_round_mode_32 0
		.amdhsa_float_round_mode_16_64 0
		.amdhsa_float_denorm_mode_32 3
		.amdhsa_float_denorm_mode_16_64 3
		.amdhsa_dx10_clamp 1
		.amdhsa_ieee_mode 1
		.amdhsa_fp16_overflow 0
		.amdhsa_exception_fp_ieee_invalid_op 0
		.amdhsa_exception_fp_denorm_src 0
		.amdhsa_exception_fp_ieee_div_zero 0
		.amdhsa_exception_fp_ieee_overflow 0
		.amdhsa_exception_fp_ieee_underflow 0
		.amdhsa_exception_fp_ieee_inexact 0
		.amdhsa_exception_int_div_zero 0
	.end_amdhsa_kernel
	.section	.text._Z17warp_store_kernelILj1024ELj4ELj1ELN6hipcub18WarpStoreAlgorithmE2EiEvPT3_S3_,"axG",@progbits,_Z17warp_store_kernelILj1024ELj4ELj1ELN6hipcub18WarpStoreAlgorithmE2EiEvPT3_S3_,comdat
.Lfunc_end13:
	.size	_Z17warp_store_kernelILj1024ELj4ELj1ELN6hipcub18WarpStoreAlgorithmE2EiEvPT3_S3_, .Lfunc_end13-_Z17warp_store_kernelILj1024ELj4ELj1ELN6hipcub18WarpStoreAlgorithmE2EiEvPT3_S3_
                                        ; -- End function
	.set _Z17warp_store_kernelILj1024ELj4ELj1ELN6hipcub18WarpStoreAlgorithmE2EiEvPT3_S3_.num_vgpr, 5
	.set _Z17warp_store_kernelILj1024ELj4ELj1ELN6hipcub18WarpStoreAlgorithmE2EiEvPT3_S3_.num_agpr, 0
	.set _Z17warp_store_kernelILj1024ELj4ELj1ELN6hipcub18WarpStoreAlgorithmE2EiEvPT3_S3_.numbered_sgpr, 6
	.set _Z17warp_store_kernelILj1024ELj4ELj1ELN6hipcub18WarpStoreAlgorithmE2EiEvPT3_S3_.num_named_barrier, 0
	.set _Z17warp_store_kernelILj1024ELj4ELj1ELN6hipcub18WarpStoreAlgorithmE2EiEvPT3_S3_.private_seg_size, 0
	.set _Z17warp_store_kernelILj1024ELj4ELj1ELN6hipcub18WarpStoreAlgorithmE2EiEvPT3_S3_.uses_vcc, 0
	.set _Z17warp_store_kernelILj1024ELj4ELj1ELN6hipcub18WarpStoreAlgorithmE2EiEvPT3_S3_.uses_flat_scratch, 0
	.set _Z17warp_store_kernelILj1024ELj4ELj1ELN6hipcub18WarpStoreAlgorithmE2EiEvPT3_S3_.has_dyn_sized_stack, 0
	.set _Z17warp_store_kernelILj1024ELj4ELj1ELN6hipcub18WarpStoreAlgorithmE2EiEvPT3_S3_.has_recursion, 0
	.set _Z17warp_store_kernelILj1024ELj4ELj1ELN6hipcub18WarpStoreAlgorithmE2EiEvPT3_S3_.has_indirect_call, 0
	.section	.AMDGPU.csdata,"",@progbits
; Kernel info:
; codeLenInByte = 40
; TotalNumSgprs: 10
; NumVgprs: 5
; ScratchSize: 0
; MemoryBound: 0
; FloatMode: 240
; IeeeMode: 1
; LDSByteSize: 0 bytes/workgroup (compile time only)
; SGPRBlocks: 1
; VGPRBlocks: 1
; NumSGPRsForWavesPerEU: 10
; NumVGPRsForWavesPerEU: 5
; Occupancy: 10
; WaveLimiterHint : 0
; COMPUTE_PGM_RSRC2:SCRATCH_EN: 0
; COMPUTE_PGM_RSRC2:USER_SGPR: 6
; COMPUTE_PGM_RSRC2:TRAP_HANDLER: 0
; COMPUTE_PGM_RSRC2:TGID_X_EN: 1
; COMPUTE_PGM_RSRC2:TGID_Y_EN: 0
; COMPUTE_PGM_RSRC2:TGID_Z_EN: 0
; COMPUTE_PGM_RSRC2:TIDIG_COMP_CNT: 0
	.section	.text._Z17warp_store_kernelILj1024ELj4ELj1ELN6hipcub18WarpStoreAlgorithmE1EiEvPT3_S3_,"axG",@progbits,_Z17warp_store_kernelILj1024ELj4ELj1ELN6hipcub18WarpStoreAlgorithmE1EiEvPT3_S3_,comdat
	.protected	_Z17warp_store_kernelILj1024ELj4ELj1ELN6hipcub18WarpStoreAlgorithmE1EiEvPT3_S3_ ; -- Begin function _Z17warp_store_kernelILj1024ELj4ELj1ELN6hipcub18WarpStoreAlgorithmE1EiEvPT3_S3_
	.globl	_Z17warp_store_kernelILj1024ELj4ELj1ELN6hipcub18WarpStoreAlgorithmE1EiEvPT3_S3_
	.p2align	8
	.type	_Z17warp_store_kernelILj1024ELj4ELj1ELN6hipcub18WarpStoreAlgorithmE1EiEvPT3_S3_,@function
_Z17warp_store_kernelILj1024ELj4ELj1ELN6hipcub18WarpStoreAlgorithmE1EiEvPT3_S3_: ; @_Z17warp_store_kernelILj1024ELj4ELj1ELN6hipcub18WarpStoreAlgorithmE1EiEvPT3_S3_
; %bb.0:
	s_load_dwordx4 s[0:3], s[4:5], 0x0
	v_lshlrev_b32_e32 v4, 4, v0
	s_waitcnt lgkmcnt(0)
	global_load_dwordx4 v[0:3], v4, s[0:1]
	s_waitcnt vmcnt(0)
	global_store_dwordx4 v4, v[0:3], s[2:3]
	s_endpgm
	.section	.rodata,"a",@progbits
	.p2align	6, 0x0
	.amdhsa_kernel _Z17warp_store_kernelILj1024ELj4ELj1ELN6hipcub18WarpStoreAlgorithmE1EiEvPT3_S3_
		.amdhsa_group_segment_fixed_size 0
		.amdhsa_private_segment_fixed_size 0
		.amdhsa_kernarg_size 16
		.amdhsa_user_sgpr_count 6
		.amdhsa_user_sgpr_private_segment_buffer 1
		.amdhsa_user_sgpr_dispatch_ptr 0
		.amdhsa_user_sgpr_queue_ptr 0
		.amdhsa_user_sgpr_kernarg_segment_ptr 1
		.amdhsa_user_sgpr_dispatch_id 0
		.amdhsa_user_sgpr_flat_scratch_init 0
		.amdhsa_user_sgpr_private_segment_size 0
		.amdhsa_uses_dynamic_stack 0
		.amdhsa_system_sgpr_private_segment_wavefront_offset 0
		.amdhsa_system_sgpr_workgroup_id_x 1
		.amdhsa_system_sgpr_workgroup_id_y 0
		.amdhsa_system_sgpr_workgroup_id_z 0
		.amdhsa_system_sgpr_workgroup_info 0
		.amdhsa_system_vgpr_workitem_id 0
		.amdhsa_next_free_vgpr 5
		.amdhsa_next_free_sgpr 6
		.amdhsa_reserve_vcc 0
		.amdhsa_reserve_flat_scratch 0
		.amdhsa_float_round_mode_32 0
		.amdhsa_float_round_mode_16_64 0
		.amdhsa_float_denorm_mode_32 3
		.amdhsa_float_denorm_mode_16_64 3
		.amdhsa_dx10_clamp 1
		.amdhsa_ieee_mode 1
		.amdhsa_fp16_overflow 0
		.amdhsa_exception_fp_ieee_invalid_op 0
		.amdhsa_exception_fp_denorm_src 0
		.amdhsa_exception_fp_ieee_div_zero 0
		.amdhsa_exception_fp_ieee_overflow 0
		.amdhsa_exception_fp_ieee_underflow 0
		.amdhsa_exception_fp_ieee_inexact 0
		.amdhsa_exception_int_div_zero 0
	.end_amdhsa_kernel
	.section	.text._Z17warp_store_kernelILj1024ELj4ELj1ELN6hipcub18WarpStoreAlgorithmE1EiEvPT3_S3_,"axG",@progbits,_Z17warp_store_kernelILj1024ELj4ELj1ELN6hipcub18WarpStoreAlgorithmE1EiEvPT3_S3_,comdat
.Lfunc_end14:
	.size	_Z17warp_store_kernelILj1024ELj4ELj1ELN6hipcub18WarpStoreAlgorithmE1EiEvPT3_S3_, .Lfunc_end14-_Z17warp_store_kernelILj1024ELj4ELj1ELN6hipcub18WarpStoreAlgorithmE1EiEvPT3_S3_
                                        ; -- End function
	.set _Z17warp_store_kernelILj1024ELj4ELj1ELN6hipcub18WarpStoreAlgorithmE1EiEvPT3_S3_.num_vgpr, 5
	.set _Z17warp_store_kernelILj1024ELj4ELj1ELN6hipcub18WarpStoreAlgorithmE1EiEvPT3_S3_.num_agpr, 0
	.set _Z17warp_store_kernelILj1024ELj4ELj1ELN6hipcub18WarpStoreAlgorithmE1EiEvPT3_S3_.numbered_sgpr, 6
	.set _Z17warp_store_kernelILj1024ELj4ELj1ELN6hipcub18WarpStoreAlgorithmE1EiEvPT3_S3_.num_named_barrier, 0
	.set _Z17warp_store_kernelILj1024ELj4ELj1ELN6hipcub18WarpStoreAlgorithmE1EiEvPT3_S3_.private_seg_size, 0
	.set _Z17warp_store_kernelILj1024ELj4ELj1ELN6hipcub18WarpStoreAlgorithmE1EiEvPT3_S3_.uses_vcc, 0
	.set _Z17warp_store_kernelILj1024ELj4ELj1ELN6hipcub18WarpStoreAlgorithmE1EiEvPT3_S3_.uses_flat_scratch, 0
	.set _Z17warp_store_kernelILj1024ELj4ELj1ELN6hipcub18WarpStoreAlgorithmE1EiEvPT3_S3_.has_dyn_sized_stack, 0
	.set _Z17warp_store_kernelILj1024ELj4ELj1ELN6hipcub18WarpStoreAlgorithmE1EiEvPT3_S3_.has_recursion, 0
	.set _Z17warp_store_kernelILj1024ELj4ELj1ELN6hipcub18WarpStoreAlgorithmE1EiEvPT3_S3_.has_indirect_call, 0
	.section	.AMDGPU.csdata,"",@progbits
; Kernel info:
; codeLenInByte = 40
; TotalNumSgprs: 10
; NumVgprs: 5
; ScratchSize: 0
; MemoryBound: 0
; FloatMode: 240
; IeeeMode: 1
; LDSByteSize: 0 bytes/workgroup (compile time only)
; SGPRBlocks: 1
; VGPRBlocks: 1
; NumSGPRsForWavesPerEU: 10
; NumVGPRsForWavesPerEU: 5
; Occupancy: 10
; WaveLimiterHint : 0
; COMPUTE_PGM_RSRC2:SCRATCH_EN: 0
; COMPUTE_PGM_RSRC2:USER_SGPR: 6
; COMPUTE_PGM_RSRC2:TRAP_HANDLER: 0
; COMPUTE_PGM_RSRC2:TGID_X_EN: 1
; COMPUTE_PGM_RSRC2:TGID_Y_EN: 0
; COMPUTE_PGM_RSRC2:TGID_Z_EN: 0
; COMPUTE_PGM_RSRC2:TIDIG_COMP_CNT: 0
	.section	.text._Z17warp_store_kernelILj1024ELj4ELj1ELN6hipcub18WarpStoreAlgorithmE0EiEvPT3_S3_,"axG",@progbits,_Z17warp_store_kernelILj1024ELj4ELj1ELN6hipcub18WarpStoreAlgorithmE0EiEvPT3_S3_,comdat
	.protected	_Z17warp_store_kernelILj1024ELj4ELj1ELN6hipcub18WarpStoreAlgorithmE0EiEvPT3_S3_ ; -- Begin function _Z17warp_store_kernelILj1024ELj4ELj1ELN6hipcub18WarpStoreAlgorithmE0EiEvPT3_S3_
	.globl	_Z17warp_store_kernelILj1024ELj4ELj1ELN6hipcub18WarpStoreAlgorithmE0EiEvPT3_S3_
	.p2align	8
	.type	_Z17warp_store_kernelILj1024ELj4ELj1ELN6hipcub18WarpStoreAlgorithmE0EiEvPT3_S3_,@function
_Z17warp_store_kernelILj1024ELj4ELj1ELN6hipcub18WarpStoreAlgorithmE0EiEvPT3_S3_: ; @_Z17warp_store_kernelILj1024ELj4ELj1ELN6hipcub18WarpStoreAlgorithmE0EiEvPT3_S3_
; %bb.0:
	s_load_dwordx4 s[0:3], s[4:5], 0x0
	v_lshlrev_b32_e32 v4, 4, v0
	s_waitcnt lgkmcnt(0)
	global_load_dwordx4 v[0:3], v4, s[0:1]
	s_waitcnt vmcnt(0)
	global_store_dwordx4 v4, v[0:3], s[2:3]
	s_endpgm
	.section	.rodata,"a",@progbits
	.p2align	6, 0x0
	.amdhsa_kernel _Z17warp_store_kernelILj1024ELj4ELj1ELN6hipcub18WarpStoreAlgorithmE0EiEvPT3_S3_
		.amdhsa_group_segment_fixed_size 0
		.amdhsa_private_segment_fixed_size 0
		.amdhsa_kernarg_size 16
		.amdhsa_user_sgpr_count 6
		.amdhsa_user_sgpr_private_segment_buffer 1
		.amdhsa_user_sgpr_dispatch_ptr 0
		.amdhsa_user_sgpr_queue_ptr 0
		.amdhsa_user_sgpr_kernarg_segment_ptr 1
		.amdhsa_user_sgpr_dispatch_id 0
		.amdhsa_user_sgpr_flat_scratch_init 0
		.amdhsa_user_sgpr_private_segment_size 0
		.amdhsa_uses_dynamic_stack 0
		.amdhsa_system_sgpr_private_segment_wavefront_offset 0
		.amdhsa_system_sgpr_workgroup_id_x 1
		.amdhsa_system_sgpr_workgroup_id_y 0
		.amdhsa_system_sgpr_workgroup_id_z 0
		.amdhsa_system_sgpr_workgroup_info 0
		.amdhsa_system_vgpr_workitem_id 0
		.amdhsa_next_free_vgpr 5
		.amdhsa_next_free_sgpr 6
		.amdhsa_reserve_vcc 0
		.amdhsa_reserve_flat_scratch 0
		.amdhsa_float_round_mode_32 0
		.amdhsa_float_round_mode_16_64 0
		.amdhsa_float_denorm_mode_32 3
		.amdhsa_float_denorm_mode_16_64 3
		.amdhsa_dx10_clamp 1
		.amdhsa_ieee_mode 1
		.amdhsa_fp16_overflow 0
		.amdhsa_exception_fp_ieee_invalid_op 0
		.amdhsa_exception_fp_denorm_src 0
		.amdhsa_exception_fp_ieee_div_zero 0
		.amdhsa_exception_fp_ieee_overflow 0
		.amdhsa_exception_fp_ieee_underflow 0
		.amdhsa_exception_fp_ieee_inexact 0
		.amdhsa_exception_int_div_zero 0
	.end_amdhsa_kernel
	.section	.text._Z17warp_store_kernelILj1024ELj4ELj1ELN6hipcub18WarpStoreAlgorithmE0EiEvPT3_S3_,"axG",@progbits,_Z17warp_store_kernelILj1024ELj4ELj1ELN6hipcub18WarpStoreAlgorithmE0EiEvPT3_S3_,comdat
.Lfunc_end15:
	.size	_Z17warp_store_kernelILj1024ELj4ELj1ELN6hipcub18WarpStoreAlgorithmE0EiEvPT3_S3_, .Lfunc_end15-_Z17warp_store_kernelILj1024ELj4ELj1ELN6hipcub18WarpStoreAlgorithmE0EiEvPT3_S3_
                                        ; -- End function
	.set _Z17warp_store_kernelILj1024ELj4ELj1ELN6hipcub18WarpStoreAlgorithmE0EiEvPT3_S3_.num_vgpr, 5
	.set _Z17warp_store_kernelILj1024ELj4ELj1ELN6hipcub18WarpStoreAlgorithmE0EiEvPT3_S3_.num_agpr, 0
	.set _Z17warp_store_kernelILj1024ELj4ELj1ELN6hipcub18WarpStoreAlgorithmE0EiEvPT3_S3_.numbered_sgpr, 6
	.set _Z17warp_store_kernelILj1024ELj4ELj1ELN6hipcub18WarpStoreAlgorithmE0EiEvPT3_S3_.num_named_barrier, 0
	.set _Z17warp_store_kernelILj1024ELj4ELj1ELN6hipcub18WarpStoreAlgorithmE0EiEvPT3_S3_.private_seg_size, 0
	.set _Z17warp_store_kernelILj1024ELj4ELj1ELN6hipcub18WarpStoreAlgorithmE0EiEvPT3_S3_.uses_vcc, 0
	.set _Z17warp_store_kernelILj1024ELj4ELj1ELN6hipcub18WarpStoreAlgorithmE0EiEvPT3_S3_.uses_flat_scratch, 0
	.set _Z17warp_store_kernelILj1024ELj4ELj1ELN6hipcub18WarpStoreAlgorithmE0EiEvPT3_S3_.has_dyn_sized_stack, 0
	.set _Z17warp_store_kernelILj1024ELj4ELj1ELN6hipcub18WarpStoreAlgorithmE0EiEvPT3_S3_.has_recursion, 0
	.set _Z17warp_store_kernelILj1024ELj4ELj1ELN6hipcub18WarpStoreAlgorithmE0EiEvPT3_S3_.has_indirect_call, 0
	.section	.AMDGPU.csdata,"",@progbits
; Kernel info:
; codeLenInByte = 40
; TotalNumSgprs: 10
; NumVgprs: 5
; ScratchSize: 0
; MemoryBound: 0
; FloatMode: 240
; IeeeMode: 1
; LDSByteSize: 0 bytes/workgroup (compile time only)
; SGPRBlocks: 1
; VGPRBlocks: 1
; NumSGPRsForWavesPerEU: 10
; NumVGPRsForWavesPerEU: 5
; Occupancy: 10
; WaveLimiterHint : 0
; COMPUTE_PGM_RSRC2:SCRATCH_EN: 0
; COMPUTE_PGM_RSRC2:USER_SGPR: 6
; COMPUTE_PGM_RSRC2:TRAP_HANDLER: 0
; COMPUTE_PGM_RSRC2:TGID_X_EN: 1
; COMPUTE_PGM_RSRC2:TGID_Y_EN: 0
; COMPUTE_PGM_RSRC2:TGID_Z_EN: 0
; COMPUTE_PGM_RSRC2:TIDIG_COMP_CNT: 0
	.section	.text._Z25warp_store_guarded_kernelILj1024ELj4ELj64ELN6hipcub18WarpStoreAlgorithmE3EiEvPT3_S3_i,"axG",@progbits,_Z25warp_store_guarded_kernelILj1024ELj4ELj64ELN6hipcub18WarpStoreAlgorithmE3EiEvPT3_S3_i,comdat
	.protected	_Z25warp_store_guarded_kernelILj1024ELj4ELj64ELN6hipcub18WarpStoreAlgorithmE3EiEvPT3_S3_i ; -- Begin function _Z25warp_store_guarded_kernelILj1024ELj4ELj64ELN6hipcub18WarpStoreAlgorithmE3EiEvPT3_S3_i
	.globl	_Z25warp_store_guarded_kernelILj1024ELj4ELj64ELN6hipcub18WarpStoreAlgorithmE3EiEvPT3_S3_i
	.p2align	8
	.type	_Z25warp_store_guarded_kernelILj1024ELj4ELj64ELN6hipcub18WarpStoreAlgorithmE3EiEvPT3_S3_i,@function
_Z25warp_store_guarded_kernelILj1024ELj4ELj64ELN6hipcub18WarpStoreAlgorithmE3EiEvPT3_S3_i: ; @_Z25warp_store_guarded_kernelILj1024ELj4ELj64ELN6hipcub18WarpStoreAlgorithmE3EiEvPT3_S3_i
; %bb.0:
	s_load_dwordx4 s[8:11], s[4:5], 0x0
	s_load_dword s2, s[4:5], 0x10
	v_lshlrev_b32_e32 v4, 4, v0
	v_mbcnt_lo_u32_b32 v5, -1, 0
	v_mbcnt_hi_u32_b32 v5, -1, v5
	s_waitcnt lgkmcnt(0)
	global_load_dwordx4 v[0:3], v4, s[8:9]
	v_and_b32_e32 v4, 0x3c00, v4
	v_lshlrev_b32_e32 v7, 2, v5
	v_lshl_add_u32 v8, v5, 4, v4
	v_or_b32_e32 v6, v4, v7
	v_mov_b32_e32 v11, s11
	v_add_co_u32_e32 v4, vcc, s10, v4
	v_addc_co_u32_e32 v11, vcc, 0, v11, vcc
	v_and_b32_e32 v9, 0x100, v7
	v_add_co_u32_e32 v7, vcc, v4, v7
	v_lshlrev_b32_e32 v10, 2, v9
	v_addc_co_u32_e32 v11, vcc, 0, v11, vcc
	v_or_b32_e32 v5, v9, v5
	s_waitcnt vmcnt(0)
	ds_write_b128 v8, v[0:3]
	; wave barrier
	ds_read2st64_b32 v[2:3], v6 offset0:1 offset1:2
	ds_read_b32 v4, v6 offset:768
	v_add_co_u32_e32 v0, vcc, v7, v10
	v_addc_co_u32_e32 v1, vcc, 0, v11, vcc
	v_cmp_gt_u32_e32 vcc, s2, v5
	s_and_saveexec_b64 s[0:1], vcc
	s_cbranch_execz .LBB16_2
; %bb.1:
	ds_read_b32 v6, v6
	s_waitcnt lgkmcnt(0)
	global_store_dword v[0:1], v6, off
.LBB16_2:
	s_or_b64 exec, exec, s[0:1]
	v_add_u32_e32 v6, 64, v5
	v_cmp_gt_u32_e32 vcc, s2, v6
	s_and_saveexec_b64 s[0:1], vcc
	s_cbranch_execz .LBB16_4
; %bb.3:
	s_waitcnt lgkmcnt(1)
	global_store_dword v[0:1], v2, off offset:256
.LBB16_4:
	s_or_b64 exec, exec, s[0:1]
	s_waitcnt lgkmcnt(1)
	v_add_u32_e32 v2, 0x80, v5
	v_cmp_gt_u32_e32 vcc, s2, v2
	s_and_saveexec_b64 s[0:1], vcc
	s_cbranch_execz .LBB16_6
; %bb.5:
	global_store_dword v[0:1], v3, off offset:512
.LBB16_6:
	s_or_b64 exec, exec, s[0:1]
	v_add_u32_e32 v2, 0xc0, v5
	v_cmp_gt_u32_e32 vcc, s2, v2
	s_and_saveexec_b64 s[0:1], vcc
	s_cbranch_execz .LBB16_8
; %bb.7:
	s_waitcnt lgkmcnt(0)
	global_store_dword v[0:1], v4, off offset:768
.LBB16_8:
	s_endpgm
	.section	.rodata,"a",@progbits
	.p2align	6, 0x0
	.amdhsa_kernel _Z25warp_store_guarded_kernelILj1024ELj4ELj64ELN6hipcub18WarpStoreAlgorithmE3EiEvPT3_S3_i
		.amdhsa_group_segment_fixed_size 16384
		.amdhsa_private_segment_fixed_size 0
		.amdhsa_kernarg_size 20
		.amdhsa_user_sgpr_count 6
		.amdhsa_user_sgpr_private_segment_buffer 1
		.amdhsa_user_sgpr_dispatch_ptr 0
		.amdhsa_user_sgpr_queue_ptr 0
		.amdhsa_user_sgpr_kernarg_segment_ptr 1
		.amdhsa_user_sgpr_dispatch_id 0
		.amdhsa_user_sgpr_flat_scratch_init 0
		.amdhsa_user_sgpr_private_segment_size 0
		.amdhsa_uses_dynamic_stack 0
		.amdhsa_system_sgpr_private_segment_wavefront_offset 0
		.amdhsa_system_sgpr_workgroup_id_x 1
		.amdhsa_system_sgpr_workgroup_id_y 0
		.amdhsa_system_sgpr_workgroup_id_z 0
		.amdhsa_system_sgpr_workgroup_info 0
		.amdhsa_system_vgpr_workitem_id 0
		.amdhsa_next_free_vgpr 29
		.amdhsa_next_free_sgpr 61
		.amdhsa_reserve_vcc 1
		.amdhsa_reserve_flat_scratch 0
		.amdhsa_float_round_mode_32 0
		.amdhsa_float_round_mode_16_64 0
		.amdhsa_float_denorm_mode_32 3
		.amdhsa_float_denorm_mode_16_64 3
		.amdhsa_dx10_clamp 1
		.amdhsa_ieee_mode 1
		.amdhsa_fp16_overflow 0
		.amdhsa_exception_fp_ieee_invalid_op 0
		.amdhsa_exception_fp_denorm_src 0
		.amdhsa_exception_fp_ieee_div_zero 0
		.amdhsa_exception_fp_ieee_overflow 0
		.amdhsa_exception_fp_ieee_underflow 0
		.amdhsa_exception_fp_ieee_inexact 0
		.amdhsa_exception_int_div_zero 0
	.end_amdhsa_kernel
	.section	.text._Z25warp_store_guarded_kernelILj1024ELj4ELj64ELN6hipcub18WarpStoreAlgorithmE3EiEvPT3_S3_i,"axG",@progbits,_Z25warp_store_guarded_kernelILj1024ELj4ELj64ELN6hipcub18WarpStoreAlgorithmE3EiEvPT3_S3_i,comdat
.Lfunc_end16:
	.size	_Z25warp_store_guarded_kernelILj1024ELj4ELj64ELN6hipcub18WarpStoreAlgorithmE3EiEvPT3_S3_i, .Lfunc_end16-_Z25warp_store_guarded_kernelILj1024ELj4ELj64ELN6hipcub18WarpStoreAlgorithmE3EiEvPT3_S3_i
                                        ; -- End function
	.set _Z25warp_store_guarded_kernelILj1024ELj4ELj64ELN6hipcub18WarpStoreAlgorithmE3EiEvPT3_S3_i.num_vgpr, 12
	.set _Z25warp_store_guarded_kernelILj1024ELj4ELj64ELN6hipcub18WarpStoreAlgorithmE3EiEvPT3_S3_i.num_agpr, 0
	.set _Z25warp_store_guarded_kernelILj1024ELj4ELj64ELN6hipcub18WarpStoreAlgorithmE3EiEvPT3_S3_i.numbered_sgpr, 12
	.set _Z25warp_store_guarded_kernelILj1024ELj4ELj64ELN6hipcub18WarpStoreAlgorithmE3EiEvPT3_S3_i.num_named_barrier, 0
	.set _Z25warp_store_guarded_kernelILj1024ELj4ELj64ELN6hipcub18WarpStoreAlgorithmE3EiEvPT3_S3_i.private_seg_size, 0
	.set _Z25warp_store_guarded_kernelILj1024ELj4ELj64ELN6hipcub18WarpStoreAlgorithmE3EiEvPT3_S3_i.uses_vcc, 1
	.set _Z25warp_store_guarded_kernelILj1024ELj4ELj64ELN6hipcub18WarpStoreAlgorithmE3EiEvPT3_S3_i.uses_flat_scratch, 0
	.set _Z25warp_store_guarded_kernelILj1024ELj4ELj64ELN6hipcub18WarpStoreAlgorithmE3EiEvPT3_S3_i.has_dyn_sized_stack, 0
	.set _Z25warp_store_guarded_kernelILj1024ELj4ELj64ELN6hipcub18WarpStoreAlgorithmE3EiEvPT3_S3_i.has_recursion, 0
	.set _Z25warp_store_guarded_kernelILj1024ELj4ELj64ELN6hipcub18WarpStoreAlgorithmE3EiEvPT3_S3_i.has_indirect_call, 0
	.section	.AMDGPU.csdata,"",@progbits
; Kernel info:
; codeLenInByte = 284
; TotalNumSgprs: 16
; NumVgprs: 12
; ScratchSize: 0
; MemoryBound: 0
; FloatMode: 240
; IeeeMode: 1
; LDSByteSize: 16384 bytes/workgroup (compile time only)
; SGPRBlocks: 8
; VGPRBlocks: 7
; NumSGPRsForWavesPerEU: 65
; NumVGPRsForWavesPerEU: 29
; Occupancy: 8
; WaveLimiterHint : 0
; COMPUTE_PGM_RSRC2:SCRATCH_EN: 0
; COMPUTE_PGM_RSRC2:USER_SGPR: 6
; COMPUTE_PGM_RSRC2:TRAP_HANDLER: 0
; COMPUTE_PGM_RSRC2:TGID_X_EN: 1
; COMPUTE_PGM_RSRC2:TGID_Y_EN: 0
; COMPUTE_PGM_RSRC2:TGID_Z_EN: 0
; COMPUTE_PGM_RSRC2:TIDIG_COMP_CNT: 0
	.section	.text._Z25warp_store_guarded_kernelILj1024ELj4ELj64ELN6hipcub18WarpStoreAlgorithmE2EiEvPT3_S3_i,"axG",@progbits,_Z25warp_store_guarded_kernelILj1024ELj4ELj64ELN6hipcub18WarpStoreAlgorithmE2EiEvPT3_S3_i,comdat
	.protected	_Z25warp_store_guarded_kernelILj1024ELj4ELj64ELN6hipcub18WarpStoreAlgorithmE2EiEvPT3_S3_i ; -- Begin function _Z25warp_store_guarded_kernelILj1024ELj4ELj64ELN6hipcub18WarpStoreAlgorithmE2EiEvPT3_S3_i
	.globl	_Z25warp_store_guarded_kernelILj1024ELj4ELj64ELN6hipcub18WarpStoreAlgorithmE2EiEvPT3_S3_i
	.p2align	8
	.type	_Z25warp_store_guarded_kernelILj1024ELj4ELj64ELN6hipcub18WarpStoreAlgorithmE2EiEvPT3_S3_i,@function
_Z25warp_store_guarded_kernelILj1024ELj4ELj64ELN6hipcub18WarpStoreAlgorithmE2EiEvPT3_S3_i: ; @_Z25warp_store_guarded_kernelILj1024ELj4ELj64ELN6hipcub18WarpStoreAlgorithmE2EiEvPT3_S3_i
; %bb.0:
	s_load_dwordx4 s[0:3], s[4:5], 0x0
	s_load_dword s6, s[4:5], 0x10
	v_lshlrev_b32_e32 v6, 4, v0
	v_mbcnt_lo_u32_b32 v3, -1, 0
	v_and_b32_e32 v4, 0x3c00, v6
	s_waitcnt lgkmcnt(0)
	global_load_dwordx3 v[0:2], v6, s[0:1] offset:4
	v_mbcnt_hi_u32_b32 v3, -1, v3
	v_mov_b32_e32 v5, s3
	v_add_co_u32_e32 v4, vcc, s2, v4
	v_addc_co_u32_e32 v7, vcc, 0, v5, vcc
	v_lshlrev_b32_e32 v5, 2, v3
	v_lshlrev_b32_e32 v3, 4, v3
	v_add_co_u32_e32 v3, vcc, v4, v3
	v_addc_co_u32_e32 v4, vcc, 0, v7, vcc
	v_cmp_gt_u32_e32 vcc, s6, v5
	s_and_saveexec_b64 s[2:3], vcc
	s_cbranch_execz .LBB17_2
; %bb.1:
	v_mov_b32_e32 v7, s1
	v_add_co_u32_e32 v6, vcc, s0, v6
	v_addc_co_u32_e32 v7, vcc, 0, v7, vcc
	global_load_dword v6, v[6:7], off
	s_waitcnt vmcnt(0)
	global_store_dword v[3:4], v6, off
.LBB17_2:
	s_or_b64 exec, exec, s[2:3]
	v_or_b32_e32 v6, 1, v5
	v_cmp_gt_u32_e32 vcc, s6, v6
	s_and_saveexec_b64 s[0:1], vcc
	s_cbranch_execz .LBB17_4
; %bb.3:
	s_waitcnt vmcnt(0)
	global_store_dword v[3:4], v0, off offset:4
.LBB17_4:
	s_or_b64 exec, exec, s[0:1]
	s_waitcnt vmcnt(0)
	v_or_b32_e32 v0, 2, v5
	v_cmp_gt_u32_e32 vcc, s6, v0
	s_and_saveexec_b64 s[0:1], vcc
	s_cbranch_execz .LBB17_6
; %bb.5:
	global_store_dword v[3:4], v1, off offset:8
.LBB17_6:
	s_or_b64 exec, exec, s[0:1]
	v_or_b32_e32 v0, 3, v5
	v_cmp_gt_u32_e32 vcc, s6, v0
	s_and_saveexec_b64 s[0:1], vcc
	s_cbranch_execz .LBB17_8
; %bb.7:
	global_store_dword v[3:4], v2, off offset:12
.LBB17_8:
	s_endpgm
	.section	.rodata,"a",@progbits
	.p2align	6, 0x0
	.amdhsa_kernel _Z25warp_store_guarded_kernelILj1024ELj4ELj64ELN6hipcub18WarpStoreAlgorithmE2EiEvPT3_S3_i
		.amdhsa_group_segment_fixed_size 0
		.amdhsa_private_segment_fixed_size 0
		.amdhsa_kernarg_size 20
		.amdhsa_user_sgpr_count 6
		.amdhsa_user_sgpr_private_segment_buffer 1
		.amdhsa_user_sgpr_dispatch_ptr 0
		.amdhsa_user_sgpr_queue_ptr 0
		.amdhsa_user_sgpr_kernarg_segment_ptr 1
		.amdhsa_user_sgpr_dispatch_id 0
		.amdhsa_user_sgpr_flat_scratch_init 0
		.amdhsa_user_sgpr_private_segment_size 0
		.amdhsa_uses_dynamic_stack 0
		.amdhsa_system_sgpr_private_segment_wavefront_offset 0
		.amdhsa_system_sgpr_workgroup_id_x 1
		.amdhsa_system_sgpr_workgroup_id_y 0
		.amdhsa_system_sgpr_workgroup_id_z 0
		.amdhsa_system_sgpr_workgroup_info 0
		.amdhsa_system_vgpr_workitem_id 0
		.amdhsa_next_free_vgpr 8
		.amdhsa_next_free_sgpr 7
		.amdhsa_reserve_vcc 1
		.amdhsa_reserve_flat_scratch 0
		.amdhsa_float_round_mode_32 0
		.amdhsa_float_round_mode_16_64 0
		.amdhsa_float_denorm_mode_32 3
		.amdhsa_float_denorm_mode_16_64 3
		.amdhsa_dx10_clamp 1
		.amdhsa_ieee_mode 1
		.amdhsa_fp16_overflow 0
		.amdhsa_exception_fp_ieee_invalid_op 0
		.amdhsa_exception_fp_denorm_src 0
		.amdhsa_exception_fp_ieee_div_zero 0
		.amdhsa_exception_fp_ieee_overflow 0
		.amdhsa_exception_fp_ieee_underflow 0
		.amdhsa_exception_fp_ieee_inexact 0
		.amdhsa_exception_int_div_zero 0
	.end_amdhsa_kernel
	.section	.text._Z25warp_store_guarded_kernelILj1024ELj4ELj64ELN6hipcub18WarpStoreAlgorithmE2EiEvPT3_S3_i,"axG",@progbits,_Z25warp_store_guarded_kernelILj1024ELj4ELj64ELN6hipcub18WarpStoreAlgorithmE2EiEvPT3_S3_i,comdat
.Lfunc_end17:
	.size	_Z25warp_store_guarded_kernelILj1024ELj4ELj64ELN6hipcub18WarpStoreAlgorithmE2EiEvPT3_S3_i, .Lfunc_end17-_Z25warp_store_guarded_kernelILj1024ELj4ELj64ELN6hipcub18WarpStoreAlgorithmE2EiEvPT3_S3_i
                                        ; -- End function
	.set _Z25warp_store_guarded_kernelILj1024ELj4ELj64ELN6hipcub18WarpStoreAlgorithmE2EiEvPT3_S3_i.num_vgpr, 8
	.set _Z25warp_store_guarded_kernelILj1024ELj4ELj64ELN6hipcub18WarpStoreAlgorithmE2EiEvPT3_S3_i.num_agpr, 0
	.set _Z25warp_store_guarded_kernelILj1024ELj4ELj64ELN6hipcub18WarpStoreAlgorithmE2EiEvPT3_S3_i.numbered_sgpr, 7
	.set _Z25warp_store_guarded_kernelILj1024ELj4ELj64ELN6hipcub18WarpStoreAlgorithmE2EiEvPT3_S3_i.num_named_barrier, 0
	.set _Z25warp_store_guarded_kernelILj1024ELj4ELj64ELN6hipcub18WarpStoreAlgorithmE2EiEvPT3_S3_i.private_seg_size, 0
	.set _Z25warp_store_guarded_kernelILj1024ELj4ELj64ELN6hipcub18WarpStoreAlgorithmE2EiEvPT3_S3_i.uses_vcc, 1
	.set _Z25warp_store_guarded_kernelILj1024ELj4ELj64ELN6hipcub18WarpStoreAlgorithmE2EiEvPT3_S3_i.uses_flat_scratch, 0
	.set _Z25warp_store_guarded_kernelILj1024ELj4ELj64ELN6hipcub18WarpStoreAlgorithmE2EiEvPT3_S3_i.has_dyn_sized_stack, 0
	.set _Z25warp_store_guarded_kernelILj1024ELj4ELj64ELN6hipcub18WarpStoreAlgorithmE2EiEvPT3_S3_i.has_recursion, 0
	.set _Z25warp_store_guarded_kernelILj1024ELj4ELj64ELN6hipcub18WarpStoreAlgorithmE2EiEvPT3_S3_i.has_indirect_call, 0
	.section	.AMDGPU.csdata,"",@progbits
; Kernel info:
; codeLenInByte = 224
; TotalNumSgprs: 11
; NumVgprs: 8
; ScratchSize: 0
; MemoryBound: 0
; FloatMode: 240
; IeeeMode: 1
; LDSByteSize: 0 bytes/workgroup (compile time only)
; SGPRBlocks: 1
; VGPRBlocks: 1
; NumSGPRsForWavesPerEU: 11
; NumVGPRsForWavesPerEU: 8
; Occupancy: 10
; WaveLimiterHint : 0
; COMPUTE_PGM_RSRC2:SCRATCH_EN: 0
; COMPUTE_PGM_RSRC2:USER_SGPR: 6
; COMPUTE_PGM_RSRC2:TRAP_HANDLER: 0
; COMPUTE_PGM_RSRC2:TGID_X_EN: 1
; COMPUTE_PGM_RSRC2:TGID_Y_EN: 0
; COMPUTE_PGM_RSRC2:TGID_Z_EN: 0
; COMPUTE_PGM_RSRC2:TIDIG_COMP_CNT: 0
	.section	.text._Z25warp_store_guarded_kernelILj1024ELj4ELj64ELN6hipcub18WarpStoreAlgorithmE1EiEvPT3_S3_i,"axG",@progbits,_Z25warp_store_guarded_kernelILj1024ELj4ELj64ELN6hipcub18WarpStoreAlgorithmE1EiEvPT3_S3_i,comdat
	.protected	_Z25warp_store_guarded_kernelILj1024ELj4ELj64ELN6hipcub18WarpStoreAlgorithmE1EiEvPT3_S3_i ; -- Begin function _Z25warp_store_guarded_kernelILj1024ELj4ELj64ELN6hipcub18WarpStoreAlgorithmE1EiEvPT3_S3_i
	.globl	_Z25warp_store_guarded_kernelILj1024ELj4ELj64ELN6hipcub18WarpStoreAlgorithmE1EiEvPT3_S3_i
	.p2align	8
	.type	_Z25warp_store_guarded_kernelILj1024ELj4ELj64ELN6hipcub18WarpStoreAlgorithmE1EiEvPT3_S3_i,@function
_Z25warp_store_guarded_kernelILj1024ELj4ELj64ELN6hipcub18WarpStoreAlgorithmE1EiEvPT3_S3_i: ; @_Z25warp_store_guarded_kernelILj1024ELj4ELj64ELN6hipcub18WarpStoreAlgorithmE1EiEvPT3_S3_i
; %bb.0:
	s_load_dwordx4 s[0:3], s[4:5], 0x0
	s_load_dword s6, s[4:5], 0x10
	v_lshlrev_b32_e32 v6, 4, v0
	v_mbcnt_lo_u32_b32 v3, -1, 0
	v_mbcnt_hi_u32_b32 v5, -1, v3
	s_waitcnt lgkmcnt(0)
	global_load_dwordx3 v[0:2], v6, s[0:1] offset:4
	v_and_b32_e32 v3, 0x3c00, v6
	v_mov_b32_e32 v4, s3
	v_add_co_u32_e32 v3, vcc, s2, v3
	v_addc_co_u32_e32 v4, vcc, 0, v4, vcc
	v_lshlrev_b32_e32 v7, 2, v5
	v_and_b32_e32 v8, 0x100, v7
	v_add_co_u32_e32 v3, vcc, v3, v7
	v_addc_co_u32_e32 v4, vcc, 0, v4, vcc
	v_lshlrev_b32_e32 v7, 2, v8
	v_add_co_u32_e32 v3, vcc, v3, v7
	v_addc_co_u32_e32 v4, vcc, 0, v4, vcc
	v_or_b32_e32 v5, v8, v5
	v_cmp_gt_u32_e32 vcc, s6, v5
	s_and_saveexec_b64 s[2:3], vcc
	s_cbranch_execz .LBB18_2
; %bb.1:
	v_mov_b32_e32 v7, s1
	v_add_co_u32_e32 v6, vcc, s0, v6
	v_addc_co_u32_e32 v7, vcc, 0, v7, vcc
	global_load_dword v6, v[6:7], off
	s_waitcnt vmcnt(0)
	global_store_dword v[3:4], v6, off
.LBB18_2:
	s_or_b64 exec, exec, s[2:3]
	v_add_u32_e32 v6, 64, v5
	v_cmp_gt_u32_e32 vcc, s6, v6
	s_and_saveexec_b64 s[0:1], vcc
	s_cbranch_execz .LBB18_4
; %bb.3:
	s_waitcnt vmcnt(0)
	global_store_dword v[3:4], v0, off offset:256
.LBB18_4:
	s_or_b64 exec, exec, s[0:1]
	s_waitcnt vmcnt(0)
	v_add_u32_e32 v0, 0x80, v5
	v_cmp_gt_u32_e32 vcc, s6, v0
	s_and_saveexec_b64 s[0:1], vcc
	s_cbranch_execz .LBB18_6
; %bb.5:
	global_store_dword v[3:4], v1, off offset:512
.LBB18_6:
	s_or_b64 exec, exec, s[0:1]
	v_add_u32_e32 v0, 0xc0, v5
	v_cmp_gt_u32_e32 vcc, s6, v0
	s_and_saveexec_b64 s[0:1], vcc
	s_cbranch_execz .LBB18_8
; %bb.7:
	global_store_dword v[3:4], v2, off offset:768
.LBB18_8:
	s_endpgm
	.section	.rodata,"a",@progbits
	.p2align	6, 0x0
	.amdhsa_kernel _Z25warp_store_guarded_kernelILj1024ELj4ELj64ELN6hipcub18WarpStoreAlgorithmE1EiEvPT3_S3_i
		.amdhsa_group_segment_fixed_size 0
		.amdhsa_private_segment_fixed_size 0
		.amdhsa_kernarg_size 20
		.amdhsa_user_sgpr_count 6
		.amdhsa_user_sgpr_private_segment_buffer 1
		.amdhsa_user_sgpr_dispatch_ptr 0
		.amdhsa_user_sgpr_queue_ptr 0
		.amdhsa_user_sgpr_kernarg_segment_ptr 1
		.amdhsa_user_sgpr_dispatch_id 0
		.amdhsa_user_sgpr_flat_scratch_init 0
		.amdhsa_user_sgpr_private_segment_size 0
		.amdhsa_uses_dynamic_stack 0
		.amdhsa_system_sgpr_private_segment_wavefront_offset 0
		.amdhsa_system_sgpr_workgroup_id_x 1
		.amdhsa_system_sgpr_workgroup_id_y 0
		.amdhsa_system_sgpr_workgroup_id_z 0
		.amdhsa_system_sgpr_workgroup_info 0
		.amdhsa_system_vgpr_workitem_id 0
		.amdhsa_next_free_vgpr 9
		.amdhsa_next_free_sgpr 7
		.amdhsa_reserve_vcc 1
		.amdhsa_reserve_flat_scratch 0
		.amdhsa_float_round_mode_32 0
		.amdhsa_float_round_mode_16_64 0
		.amdhsa_float_denorm_mode_32 3
		.amdhsa_float_denorm_mode_16_64 3
		.amdhsa_dx10_clamp 1
		.amdhsa_ieee_mode 1
		.amdhsa_fp16_overflow 0
		.amdhsa_exception_fp_ieee_invalid_op 0
		.amdhsa_exception_fp_denorm_src 0
		.amdhsa_exception_fp_ieee_div_zero 0
		.amdhsa_exception_fp_ieee_overflow 0
		.amdhsa_exception_fp_ieee_underflow 0
		.amdhsa_exception_fp_ieee_inexact 0
		.amdhsa_exception_int_div_zero 0
	.end_amdhsa_kernel
	.section	.text._Z25warp_store_guarded_kernelILj1024ELj4ELj64ELN6hipcub18WarpStoreAlgorithmE1EiEvPT3_S3_i,"axG",@progbits,_Z25warp_store_guarded_kernelILj1024ELj4ELj64ELN6hipcub18WarpStoreAlgorithmE1EiEvPT3_S3_i,comdat
.Lfunc_end18:
	.size	_Z25warp_store_guarded_kernelILj1024ELj4ELj64ELN6hipcub18WarpStoreAlgorithmE1EiEvPT3_S3_i, .Lfunc_end18-_Z25warp_store_guarded_kernelILj1024ELj4ELj64ELN6hipcub18WarpStoreAlgorithmE1EiEvPT3_S3_i
                                        ; -- End function
	.set _Z25warp_store_guarded_kernelILj1024ELj4ELj64ELN6hipcub18WarpStoreAlgorithmE1EiEvPT3_S3_i.num_vgpr, 9
	.set _Z25warp_store_guarded_kernelILj1024ELj4ELj64ELN6hipcub18WarpStoreAlgorithmE1EiEvPT3_S3_i.num_agpr, 0
	.set _Z25warp_store_guarded_kernelILj1024ELj4ELj64ELN6hipcub18WarpStoreAlgorithmE1EiEvPT3_S3_i.numbered_sgpr, 7
	.set _Z25warp_store_guarded_kernelILj1024ELj4ELj64ELN6hipcub18WarpStoreAlgorithmE1EiEvPT3_S3_i.num_named_barrier, 0
	.set _Z25warp_store_guarded_kernelILj1024ELj4ELj64ELN6hipcub18WarpStoreAlgorithmE1EiEvPT3_S3_i.private_seg_size, 0
	.set _Z25warp_store_guarded_kernelILj1024ELj4ELj64ELN6hipcub18WarpStoreAlgorithmE1EiEvPT3_S3_i.uses_vcc, 1
	.set _Z25warp_store_guarded_kernelILj1024ELj4ELj64ELN6hipcub18WarpStoreAlgorithmE1EiEvPT3_S3_i.uses_flat_scratch, 0
	.set _Z25warp_store_guarded_kernelILj1024ELj4ELj64ELN6hipcub18WarpStoreAlgorithmE1EiEvPT3_S3_i.has_dyn_sized_stack, 0
	.set _Z25warp_store_guarded_kernelILj1024ELj4ELj64ELN6hipcub18WarpStoreAlgorithmE1EiEvPT3_S3_i.has_recursion, 0
	.set _Z25warp_store_guarded_kernelILj1024ELj4ELj64ELN6hipcub18WarpStoreAlgorithmE1EiEvPT3_S3_i.has_indirect_call, 0
	.section	.AMDGPU.csdata,"",@progbits
; Kernel info:
; codeLenInByte = 252
; TotalNumSgprs: 11
; NumVgprs: 9
; ScratchSize: 0
; MemoryBound: 0
; FloatMode: 240
; IeeeMode: 1
; LDSByteSize: 0 bytes/workgroup (compile time only)
; SGPRBlocks: 1
; VGPRBlocks: 2
; NumSGPRsForWavesPerEU: 11
; NumVGPRsForWavesPerEU: 9
; Occupancy: 10
; WaveLimiterHint : 0
; COMPUTE_PGM_RSRC2:SCRATCH_EN: 0
; COMPUTE_PGM_RSRC2:USER_SGPR: 6
; COMPUTE_PGM_RSRC2:TRAP_HANDLER: 0
; COMPUTE_PGM_RSRC2:TGID_X_EN: 1
; COMPUTE_PGM_RSRC2:TGID_Y_EN: 0
; COMPUTE_PGM_RSRC2:TGID_Z_EN: 0
; COMPUTE_PGM_RSRC2:TIDIG_COMP_CNT: 0
	.section	.text._Z25warp_store_guarded_kernelILj1024ELj4ELj64ELN6hipcub18WarpStoreAlgorithmE0EiEvPT3_S3_i,"axG",@progbits,_Z25warp_store_guarded_kernelILj1024ELj4ELj64ELN6hipcub18WarpStoreAlgorithmE0EiEvPT3_S3_i,comdat
	.protected	_Z25warp_store_guarded_kernelILj1024ELj4ELj64ELN6hipcub18WarpStoreAlgorithmE0EiEvPT3_S3_i ; -- Begin function _Z25warp_store_guarded_kernelILj1024ELj4ELj64ELN6hipcub18WarpStoreAlgorithmE0EiEvPT3_S3_i
	.globl	_Z25warp_store_guarded_kernelILj1024ELj4ELj64ELN6hipcub18WarpStoreAlgorithmE0EiEvPT3_S3_i
	.p2align	8
	.type	_Z25warp_store_guarded_kernelILj1024ELj4ELj64ELN6hipcub18WarpStoreAlgorithmE0EiEvPT3_S3_i,@function
_Z25warp_store_guarded_kernelILj1024ELj4ELj64ELN6hipcub18WarpStoreAlgorithmE0EiEvPT3_S3_i: ; @_Z25warp_store_guarded_kernelILj1024ELj4ELj64ELN6hipcub18WarpStoreAlgorithmE0EiEvPT3_S3_i
; %bb.0:
	s_load_dwordx4 s[0:3], s[4:5], 0x0
	s_load_dword s6, s[4:5], 0x10
	v_lshlrev_b32_e32 v6, 4, v0
	v_mbcnt_lo_u32_b32 v3, -1, 0
	v_and_b32_e32 v4, 0x3c00, v6
	s_waitcnt lgkmcnt(0)
	global_load_dwordx3 v[0:2], v6, s[0:1] offset:4
	v_mbcnt_hi_u32_b32 v3, -1, v3
	v_mov_b32_e32 v5, s3
	v_add_co_u32_e32 v4, vcc, s2, v4
	v_addc_co_u32_e32 v7, vcc, 0, v5, vcc
	v_lshlrev_b32_e32 v5, 2, v3
	v_lshlrev_b32_e32 v3, 4, v3
	v_add_co_u32_e32 v3, vcc, v4, v3
	v_addc_co_u32_e32 v4, vcc, 0, v7, vcc
	v_cmp_gt_u32_e32 vcc, s6, v5
	s_and_saveexec_b64 s[2:3], vcc
	s_cbranch_execz .LBB19_2
; %bb.1:
	v_mov_b32_e32 v7, s1
	v_add_co_u32_e32 v6, vcc, s0, v6
	v_addc_co_u32_e32 v7, vcc, 0, v7, vcc
	global_load_dword v6, v[6:7], off
	s_waitcnt vmcnt(0)
	global_store_dword v[3:4], v6, off
.LBB19_2:
	s_or_b64 exec, exec, s[2:3]
	v_or_b32_e32 v6, 1, v5
	v_cmp_gt_u32_e32 vcc, s6, v6
	s_and_saveexec_b64 s[0:1], vcc
	s_cbranch_execz .LBB19_4
; %bb.3:
	s_waitcnt vmcnt(0)
	global_store_dword v[3:4], v0, off offset:4
.LBB19_4:
	s_or_b64 exec, exec, s[0:1]
	s_waitcnt vmcnt(0)
	v_or_b32_e32 v0, 2, v5
	v_cmp_gt_u32_e32 vcc, s6, v0
	s_and_saveexec_b64 s[0:1], vcc
	s_cbranch_execz .LBB19_6
; %bb.5:
	global_store_dword v[3:4], v1, off offset:8
.LBB19_6:
	s_or_b64 exec, exec, s[0:1]
	v_or_b32_e32 v0, 3, v5
	v_cmp_gt_u32_e32 vcc, s6, v0
	s_and_saveexec_b64 s[0:1], vcc
	s_cbranch_execz .LBB19_8
; %bb.7:
	global_store_dword v[3:4], v2, off offset:12
.LBB19_8:
	s_endpgm
	.section	.rodata,"a",@progbits
	.p2align	6, 0x0
	.amdhsa_kernel _Z25warp_store_guarded_kernelILj1024ELj4ELj64ELN6hipcub18WarpStoreAlgorithmE0EiEvPT3_S3_i
		.amdhsa_group_segment_fixed_size 0
		.amdhsa_private_segment_fixed_size 0
		.amdhsa_kernarg_size 20
		.amdhsa_user_sgpr_count 6
		.amdhsa_user_sgpr_private_segment_buffer 1
		.amdhsa_user_sgpr_dispatch_ptr 0
		.amdhsa_user_sgpr_queue_ptr 0
		.amdhsa_user_sgpr_kernarg_segment_ptr 1
		.amdhsa_user_sgpr_dispatch_id 0
		.amdhsa_user_sgpr_flat_scratch_init 0
		.amdhsa_user_sgpr_private_segment_size 0
		.amdhsa_uses_dynamic_stack 0
		.amdhsa_system_sgpr_private_segment_wavefront_offset 0
		.amdhsa_system_sgpr_workgroup_id_x 1
		.amdhsa_system_sgpr_workgroup_id_y 0
		.amdhsa_system_sgpr_workgroup_id_z 0
		.amdhsa_system_sgpr_workgroup_info 0
		.amdhsa_system_vgpr_workitem_id 0
		.amdhsa_next_free_vgpr 8
		.amdhsa_next_free_sgpr 7
		.amdhsa_reserve_vcc 1
		.amdhsa_reserve_flat_scratch 0
		.amdhsa_float_round_mode_32 0
		.amdhsa_float_round_mode_16_64 0
		.amdhsa_float_denorm_mode_32 3
		.amdhsa_float_denorm_mode_16_64 3
		.amdhsa_dx10_clamp 1
		.amdhsa_ieee_mode 1
		.amdhsa_fp16_overflow 0
		.amdhsa_exception_fp_ieee_invalid_op 0
		.amdhsa_exception_fp_denorm_src 0
		.amdhsa_exception_fp_ieee_div_zero 0
		.amdhsa_exception_fp_ieee_overflow 0
		.amdhsa_exception_fp_ieee_underflow 0
		.amdhsa_exception_fp_ieee_inexact 0
		.amdhsa_exception_int_div_zero 0
	.end_amdhsa_kernel
	.section	.text._Z25warp_store_guarded_kernelILj1024ELj4ELj64ELN6hipcub18WarpStoreAlgorithmE0EiEvPT3_S3_i,"axG",@progbits,_Z25warp_store_guarded_kernelILj1024ELj4ELj64ELN6hipcub18WarpStoreAlgorithmE0EiEvPT3_S3_i,comdat
.Lfunc_end19:
	.size	_Z25warp_store_guarded_kernelILj1024ELj4ELj64ELN6hipcub18WarpStoreAlgorithmE0EiEvPT3_S3_i, .Lfunc_end19-_Z25warp_store_guarded_kernelILj1024ELj4ELj64ELN6hipcub18WarpStoreAlgorithmE0EiEvPT3_S3_i
                                        ; -- End function
	.set _Z25warp_store_guarded_kernelILj1024ELj4ELj64ELN6hipcub18WarpStoreAlgorithmE0EiEvPT3_S3_i.num_vgpr, 8
	.set _Z25warp_store_guarded_kernelILj1024ELj4ELj64ELN6hipcub18WarpStoreAlgorithmE0EiEvPT3_S3_i.num_agpr, 0
	.set _Z25warp_store_guarded_kernelILj1024ELj4ELj64ELN6hipcub18WarpStoreAlgorithmE0EiEvPT3_S3_i.numbered_sgpr, 7
	.set _Z25warp_store_guarded_kernelILj1024ELj4ELj64ELN6hipcub18WarpStoreAlgorithmE0EiEvPT3_S3_i.num_named_barrier, 0
	.set _Z25warp_store_guarded_kernelILj1024ELj4ELj64ELN6hipcub18WarpStoreAlgorithmE0EiEvPT3_S3_i.private_seg_size, 0
	.set _Z25warp_store_guarded_kernelILj1024ELj4ELj64ELN6hipcub18WarpStoreAlgorithmE0EiEvPT3_S3_i.uses_vcc, 1
	.set _Z25warp_store_guarded_kernelILj1024ELj4ELj64ELN6hipcub18WarpStoreAlgorithmE0EiEvPT3_S3_i.uses_flat_scratch, 0
	.set _Z25warp_store_guarded_kernelILj1024ELj4ELj64ELN6hipcub18WarpStoreAlgorithmE0EiEvPT3_S3_i.has_dyn_sized_stack, 0
	.set _Z25warp_store_guarded_kernelILj1024ELj4ELj64ELN6hipcub18WarpStoreAlgorithmE0EiEvPT3_S3_i.has_recursion, 0
	.set _Z25warp_store_guarded_kernelILj1024ELj4ELj64ELN6hipcub18WarpStoreAlgorithmE0EiEvPT3_S3_i.has_indirect_call, 0
	.section	.AMDGPU.csdata,"",@progbits
; Kernel info:
; codeLenInByte = 224
; TotalNumSgprs: 11
; NumVgprs: 8
; ScratchSize: 0
; MemoryBound: 0
; FloatMode: 240
; IeeeMode: 1
; LDSByteSize: 0 bytes/workgroup (compile time only)
; SGPRBlocks: 1
; VGPRBlocks: 1
; NumSGPRsForWavesPerEU: 11
; NumVGPRsForWavesPerEU: 8
; Occupancy: 10
; WaveLimiterHint : 0
; COMPUTE_PGM_RSRC2:SCRATCH_EN: 0
; COMPUTE_PGM_RSRC2:USER_SGPR: 6
; COMPUTE_PGM_RSRC2:TRAP_HANDLER: 0
; COMPUTE_PGM_RSRC2:TGID_X_EN: 1
; COMPUTE_PGM_RSRC2:TGID_Y_EN: 0
; COMPUTE_PGM_RSRC2:TGID_Z_EN: 0
; COMPUTE_PGM_RSRC2:TIDIG_COMP_CNT: 0
	.section	.text._Z25warp_store_guarded_kernelILj1024ELj4ELj32ELN6hipcub18WarpStoreAlgorithmE3EiEvPT3_S3_i,"axG",@progbits,_Z25warp_store_guarded_kernelILj1024ELj4ELj32ELN6hipcub18WarpStoreAlgorithmE3EiEvPT3_S3_i,comdat
	.protected	_Z25warp_store_guarded_kernelILj1024ELj4ELj32ELN6hipcub18WarpStoreAlgorithmE3EiEvPT3_S3_i ; -- Begin function _Z25warp_store_guarded_kernelILj1024ELj4ELj32ELN6hipcub18WarpStoreAlgorithmE3EiEvPT3_S3_i
	.globl	_Z25warp_store_guarded_kernelILj1024ELj4ELj32ELN6hipcub18WarpStoreAlgorithmE3EiEvPT3_S3_i
	.p2align	8
	.type	_Z25warp_store_guarded_kernelILj1024ELj4ELj32ELN6hipcub18WarpStoreAlgorithmE3EiEvPT3_S3_i,@function
_Z25warp_store_guarded_kernelILj1024ELj4ELj32ELN6hipcub18WarpStoreAlgorithmE3EiEvPT3_S3_i: ; @_Z25warp_store_guarded_kernelILj1024ELj4ELj32ELN6hipcub18WarpStoreAlgorithmE3EiEvPT3_S3_i
; %bb.0:
	s_load_dwordx4 s[8:11], s[4:5], 0x0
	s_load_dword s2, s[4:5], 0x10
	v_lshlrev_b32_e32 v4, 4, v0
	v_mbcnt_lo_u32_b32 v5, -1, 0
	v_mbcnt_hi_u32_b32 v5, -1, v5
	s_waitcnt lgkmcnt(0)
	global_load_dwordx4 v[0:3], v4, s[8:9]
	v_and_b32_e32 v7, 0x3e00, v4
	v_and_b32_e32 v4, 31, v5
	v_lshl_or_b32 v6, v4, 4, v7
	v_mad_i32_i24 v5, v4, -12, v6
	v_mov_b32_e32 v9, s11
	v_add_co_u32_e32 v7, vcc, s10, v7
	v_lshlrev_b32_e32 v8, 2, v4
	v_addc_co_u32_e32 v9, vcc, 0, v9, vcc
	s_waitcnt vmcnt(0)
	ds_write_b128 v6, v[0:3]
	; wave barrier
	ds_read2_b32 v[2:3], v5 offset0:32 offset1:64
	ds_read_b32 v5, v5 offset:384
	v_add_co_u32_e32 v0, vcc, v7, v8
	v_addc_co_u32_e32 v1, vcc, 0, v9, vcc
	v_cmp_gt_u32_e32 vcc, s2, v4
	s_and_saveexec_b64 s[0:1], vcc
	s_cbranch_execz .LBB20_2
; %bb.1:
	v_mul_i32_i24_e32 v7, -12, v4
	v_add_u32_e32 v6, v6, v7
	ds_read_b32 v6, v6
	s_waitcnt lgkmcnt(0)
	global_store_dword v[0:1], v6, off
.LBB20_2:
	s_or_b64 exec, exec, s[0:1]
	v_or_b32_e32 v6, 32, v4
	v_cmp_gt_u32_e32 vcc, s2, v6
	s_and_saveexec_b64 s[0:1], vcc
	s_cbranch_execz .LBB20_4
; %bb.3:
	s_waitcnt lgkmcnt(1)
	global_store_dword v[0:1], v2, off offset:128
.LBB20_4:
	s_or_b64 exec, exec, s[0:1]
	s_waitcnt lgkmcnt(1)
	v_or_b32_e32 v2, 64, v4
	v_cmp_gt_u32_e32 vcc, s2, v2
	s_and_saveexec_b64 s[0:1], vcc
	s_cbranch_execz .LBB20_6
; %bb.5:
	global_store_dword v[0:1], v3, off offset:256
.LBB20_6:
	s_or_b64 exec, exec, s[0:1]
	v_or_b32_e32 v2, 0x60, v4
	v_cmp_gt_u32_e32 vcc, s2, v2
	s_and_saveexec_b64 s[0:1], vcc
	s_cbranch_execz .LBB20_8
; %bb.7:
	s_waitcnt lgkmcnt(0)
	global_store_dword v[0:1], v5, off offset:384
.LBB20_8:
	s_endpgm
	.section	.rodata,"a",@progbits
	.p2align	6, 0x0
	.amdhsa_kernel _Z25warp_store_guarded_kernelILj1024ELj4ELj32ELN6hipcub18WarpStoreAlgorithmE3EiEvPT3_S3_i
		.amdhsa_group_segment_fixed_size 16384
		.amdhsa_private_segment_fixed_size 0
		.amdhsa_kernarg_size 20
		.amdhsa_user_sgpr_count 6
		.amdhsa_user_sgpr_private_segment_buffer 1
		.amdhsa_user_sgpr_dispatch_ptr 0
		.amdhsa_user_sgpr_queue_ptr 0
		.amdhsa_user_sgpr_kernarg_segment_ptr 1
		.amdhsa_user_sgpr_dispatch_id 0
		.amdhsa_user_sgpr_flat_scratch_init 0
		.amdhsa_user_sgpr_private_segment_size 0
		.amdhsa_uses_dynamic_stack 0
		.amdhsa_system_sgpr_private_segment_wavefront_offset 0
		.amdhsa_system_sgpr_workgroup_id_x 1
		.amdhsa_system_sgpr_workgroup_id_y 0
		.amdhsa_system_sgpr_workgroup_id_z 0
		.amdhsa_system_sgpr_workgroup_info 0
		.amdhsa_system_vgpr_workitem_id 0
		.amdhsa_next_free_vgpr 29
		.amdhsa_next_free_sgpr 61
		.amdhsa_reserve_vcc 1
		.amdhsa_reserve_flat_scratch 0
		.amdhsa_float_round_mode_32 0
		.amdhsa_float_round_mode_16_64 0
		.amdhsa_float_denorm_mode_32 3
		.amdhsa_float_denorm_mode_16_64 3
		.amdhsa_dx10_clamp 1
		.amdhsa_ieee_mode 1
		.amdhsa_fp16_overflow 0
		.amdhsa_exception_fp_ieee_invalid_op 0
		.amdhsa_exception_fp_denorm_src 0
		.amdhsa_exception_fp_ieee_div_zero 0
		.amdhsa_exception_fp_ieee_overflow 0
		.amdhsa_exception_fp_ieee_underflow 0
		.amdhsa_exception_fp_ieee_inexact 0
		.amdhsa_exception_int_div_zero 0
	.end_amdhsa_kernel
	.section	.text._Z25warp_store_guarded_kernelILj1024ELj4ELj32ELN6hipcub18WarpStoreAlgorithmE3EiEvPT3_S3_i,"axG",@progbits,_Z25warp_store_guarded_kernelILj1024ELj4ELj32ELN6hipcub18WarpStoreAlgorithmE3EiEvPT3_S3_i,comdat
.Lfunc_end20:
	.size	_Z25warp_store_guarded_kernelILj1024ELj4ELj32ELN6hipcub18WarpStoreAlgorithmE3EiEvPT3_S3_i, .Lfunc_end20-_Z25warp_store_guarded_kernelILj1024ELj4ELj32ELN6hipcub18WarpStoreAlgorithmE3EiEvPT3_S3_i
                                        ; -- End function
	.set _Z25warp_store_guarded_kernelILj1024ELj4ELj32ELN6hipcub18WarpStoreAlgorithmE3EiEvPT3_S3_i.num_vgpr, 10
	.set _Z25warp_store_guarded_kernelILj1024ELj4ELj32ELN6hipcub18WarpStoreAlgorithmE3EiEvPT3_S3_i.num_agpr, 0
	.set _Z25warp_store_guarded_kernelILj1024ELj4ELj32ELN6hipcub18WarpStoreAlgorithmE3EiEvPT3_S3_i.numbered_sgpr, 12
	.set _Z25warp_store_guarded_kernelILj1024ELj4ELj32ELN6hipcub18WarpStoreAlgorithmE3EiEvPT3_S3_i.num_named_barrier, 0
	.set _Z25warp_store_guarded_kernelILj1024ELj4ELj32ELN6hipcub18WarpStoreAlgorithmE3EiEvPT3_S3_i.private_seg_size, 0
	.set _Z25warp_store_guarded_kernelILj1024ELj4ELj32ELN6hipcub18WarpStoreAlgorithmE3EiEvPT3_S3_i.uses_vcc, 1
	.set _Z25warp_store_guarded_kernelILj1024ELj4ELj32ELN6hipcub18WarpStoreAlgorithmE3EiEvPT3_S3_i.uses_flat_scratch, 0
	.set _Z25warp_store_guarded_kernelILj1024ELj4ELj32ELN6hipcub18WarpStoreAlgorithmE3EiEvPT3_S3_i.has_dyn_sized_stack, 0
	.set _Z25warp_store_guarded_kernelILj1024ELj4ELj32ELN6hipcub18WarpStoreAlgorithmE3EiEvPT3_S3_i.has_recursion, 0
	.set _Z25warp_store_guarded_kernelILj1024ELj4ELj32ELN6hipcub18WarpStoreAlgorithmE3EiEvPT3_S3_i.has_indirect_call, 0
	.section	.AMDGPU.csdata,"",@progbits
; Kernel info:
; codeLenInByte = 272
; TotalNumSgprs: 16
; NumVgprs: 10
; ScratchSize: 0
; MemoryBound: 0
; FloatMode: 240
; IeeeMode: 1
; LDSByteSize: 16384 bytes/workgroup (compile time only)
; SGPRBlocks: 8
; VGPRBlocks: 7
; NumSGPRsForWavesPerEU: 65
; NumVGPRsForWavesPerEU: 29
; Occupancy: 8
; WaveLimiterHint : 0
; COMPUTE_PGM_RSRC2:SCRATCH_EN: 0
; COMPUTE_PGM_RSRC2:USER_SGPR: 6
; COMPUTE_PGM_RSRC2:TRAP_HANDLER: 0
; COMPUTE_PGM_RSRC2:TGID_X_EN: 1
; COMPUTE_PGM_RSRC2:TGID_Y_EN: 0
; COMPUTE_PGM_RSRC2:TGID_Z_EN: 0
; COMPUTE_PGM_RSRC2:TIDIG_COMP_CNT: 0
	.section	.text._Z25warp_store_guarded_kernelILj1024ELj4ELj32ELN6hipcub18WarpStoreAlgorithmE2EiEvPT3_S3_i,"axG",@progbits,_Z25warp_store_guarded_kernelILj1024ELj4ELj32ELN6hipcub18WarpStoreAlgorithmE2EiEvPT3_S3_i,comdat
	.protected	_Z25warp_store_guarded_kernelILj1024ELj4ELj32ELN6hipcub18WarpStoreAlgorithmE2EiEvPT3_S3_i ; -- Begin function _Z25warp_store_guarded_kernelILj1024ELj4ELj32ELN6hipcub18WarpStoreAlgorithmE2EiEvPT3_S3_i
	.globl	_Z25warp_store_guarded_kernelILj1024ELj4ELj32ELN6hipcub18WarpStoreAlgorithmE2EiEvPT3_S3_i
	.p2align	8
	.type	_Z25warp_store_guarded_kernelILj1024ELj4ELj32ELN6hipcub18WarpStoreAlgorithmE2EiEvPT3_S3_i,@function
_Z25warp_store_guarded_kernelILj1024ELj4ELj32ELN6hipcub18WarpStoreAlgorithmE2EiEvPT3_S3_i: ; @_Z25warp_store_guarded_kernelILj1024ELj4ELj32ELN6hipcub18WarpStoreAlgorithmE2EiEvPT3_S3_i
; %bb.0:
	s_load_dwordx4 s[0:3], s[4:5], 0x0
	s_load_dword s6, s[4:5], 0x10
	v_lshlrev_b32_e32 v6, 4, v0
	v_mbcnt_lo_u32_b32 v3, -1, 0
	v_mbcnt_hi_u32_b32 v3, -1, v3
	s_waitcnt lgkmcnt(0)
	global_load_dwordx3 v[0:2], v6, s[0:1] offset:4
	v_and_b32_e32 v4, 0x3e00, v6
	v_mov_b32_e32 v5, s3
	v_add_co_u32_e32 v4, vcc, s2, v4
	v_lshlrev_b32_e32 v3, 2, v3
	v_addc_co_u32_e32 v7, vcc, 0, v5, vcc
	v_and_b32_e32 v5, 0x7c, v3
	v_lshlrev_b32_e32 v3, 2, v5
	v_add_co_u32_e32 v3, vcc, v4, v3
	v_addc_co_u32_e32 v4, vcc, 0, v7, vcc
	v_cmp_gt_u32_e32 vcc, s6, v5
	s_and_saveexec_b64 s[2:3], vcc
	s_cbranch_execz .LBB21_2
; %bb.1:
	v_mov_b32_e32 v7, s1
	v_add_co_u32_e32 v6, vcc, s0, v6
	v_addc_co_u32_e32 v7, vcc, 0, v7, vcc
	global_load_dword v6, v[6:7], off
	s_waitcnt vmcnt(0)
	global_store_dword v[3:4], v6, off
.LBB21_2:
	s_or_b64 exec, exec, s[2:3]
	v_or_b32_e32 v6, 1, v5
	v_cmp_gt_u32_e32 vcc, s6, v6
	s_and_saveexec_b64 s[0:1], vcc
	s_cbranch_execz .LBB21_4
; %bb.3:
	s_waitcnt vmcnt(0)
	global_store_dword v[3:4], v0, off offset:4
.LBB21_4:
	s_or_b64 exec, exec, s[0:1]
	s_waitcnt vmcnt(0)
	v_or_b32_e32 v0, 2, v5
	v_cmp_gt_u32_e32 vcc, s6, v0
	s_and_saveexec_b64 s[0:1], vcc
	s_cbranch_execz .LBB21_6
; %bb.5:
	global_store_dword v[3:4], v1, off offset:8
.LBB21_6:
	s_or_b64 exec, exec, s[0:1]
	v_or_b32_e32 v0, 3, v5
	v_cmp_gt_u32_e32 vcc, s6, v0
	s_and_saveexec_b64 s[0:1], vcc
	s_cbranch_execz .LBB21_8
; %bb.7:
	global_store_dword v[3:4], v2, off offset:12
.LBB21_8:
	s_endpgm
	.section	.rodata,"a",@progbits
	.p2align	6, 0x0
	.amdhsa_kernel _Z25warp_store_guarded_kernelILj1024ELj4ELj32ELN6hipcub18WarpStoreAlgorithmE2EiEvPT3_S3_i
		.amdhsa_group_segment_fixed_size 0
		.amdhsa_private_segment_fixed_size 0
		.amdhsa_kernarg_size 20
		.amdhsa_user_sgpr_count 6
		.amdhsa_user_sgpr_private_segment_buffer 1
		.amdhsa_user_sgpr_dispatch_ptr 0
		.amdhsa_user_sgpr_queue_ptr 0
		.amdhsa_user_sgpr_kernarg_segment_ptr 1
		.amdhsa_user_sgpr_dispatch_id 0
		.amdhsa_user_sgpr_flat_scratch_init 0
		.amdhsa_user_sgpr_private_segment_size 0
		.amdhsa_uses_dynamic_stack 0
		.amdhsa_system_sgpr_private_segment_wavefront_offset 0
		.amdhsa_system_sgpr_workgroup_id_x 1
		.amdhsa_system_sgpr_workgroup_id_y 0
		.amdhsa_system_sgpr_workgroup_id_z 0
		.amdhsa_system_sgpr_workgroup_info 0
		.amdhsa_system_vgpr_workitem_id 0
		.amdhsa_next_free_vgpr 8
		.amdhsa_next_free_sgpr 7
		.amdhsa_reserve_vcc 1
		.amdhsa_reserve_flat_scratch 0
		.amdhsa_float_round_mode_32 0
		.amdhsa_float_round_mode_16_64 0
		.amdhsa_float_denorm_mode_32 3
		.amdhsa_float_denorm_mode_16_64 3
		.amdhsa_dx10_clamp 1
		.amdhsa_ieee_mode 1
		.amdhsa_fp16_overflow 0
		.amdhsa_exception_fp_ieee_invalid_op 0
		.amdhsa_exception_fp_denorm_src 0
		.amdhsa_exception_fp_ieee_div_zero 0
		.amdhsa_exception_fp_ieee_overflow 0
		.amdhsa_exception_fp_ieee_underflow 0
		.amdhsa_exception_fp_ieee_inexact 0
		.amdhsa_exception_int_div_zero 0
	.end_amdhsa_kernel
	.section	.text._Z25warp_store_guarded_kernelILj1024ELj4ELj32ELN6hipcub18WarpStoreAlgorithmE2EiEvPT3_S3_i,"axG",@progbits,_Z25warp_store_guarded_kernelILj1024ELj4ELj32ELN6hipcub18WarpStoreAlgorithmE2EiEvPT3_S3_i,comdat
.Lfunc_end21:
	.size	_Z25warp_store_guarded_kernelILj1024ELj4ELj32ELN6hipcub18WarpStoreAlgorithmE2EiEvPT3_S3_i, .Lfunc_end21-_Z25warp_store_guarded_kernelILj1024ELj4ELj32ELN6hipcub18WarpStoreAlgorithmE2EiEvPT3_S3_i
                                        ; -- End function
	.set _Z25warp_store_guarded_kernelILj1024ELj4ELj32ELN6hipcub18WarpStoreAlgorithmE2EiEvPT3_S3_i.num_vgpr, 8
	.set _Z25warp_store_guarded_kernelILj1024ELj4ELj32ELN6hipcub18WarpStoreAlgorithmE2EiEvPT3_S3_i.num_agpr, 0
	.set _Z25warp_store_guarded_kernelILj1024ELj4ELj32ELN6hipcub18WarpStoreAlgorithmE2EiEvPT3_S3_i.numbered_sgpr, 7
	.set _Z25warp_store_guarded_kernelILj1024ELj4ELj32ELN6hipcub18WarpStoreAlgorithmE2EiEvPT3_S3_i.num_named_barrier, 0
	.set _Z25warp_store_guarded_kernelILj1024ELj4ELj32ELN6hipcub18WarpStoreAlgorithmE2EiEvPT3_S3_i.private_seg_size, 0
	.set _Z25warp_store_guarded_kernelILj1024ELj4ELj32ELN6hipcub18WarpStoreAlgorithmE2EiEvPT3_S3_i.uses_vcc, 1
	.set _Z25warp_store_guarded_kernelILj1024ELj4ELj32ELN6hipcub18WarpStoreAlgorithmE2EiEvPT3_S3_i.uses_flat_scratch, 0
	.set _Z25warp_store_guarded_kernelILj1024ELj4ELj32ELN6hipcub18WarpStoreAlgorithmE2EiEvPT3_S3_i.has_dyn_sized_stack, 0
	.set _Z25warp_store_guarded_kernelILj1024ELj4ELj32ELN6hipcub18WarpStoreAlgorithmE2EiEvPT3_S3_i.has_recursion, 0
	.set _Z25warp_store_guarded_kernelILj1024ELj4ELj32ELN6hipcub18WarpStoreAlgorithmE2EiEvPT3_S3_i.has_indirect_call, 0
	.section	.AMDGPU.csdata,"",@progbits
; Kernel info:
; codeLenInByte = 232
; TotalNumSgprs: 11
; NumVgprs: 8
; ScratchSize: 0
; MemoryBound: 0
; FloatMode: 240
; IeeeMode: 1
; LDSByteSize: 0 bytes/workgroup (compile time only)
; SGPRBlocks: 1
; VGPRBlocks: 1
; NumSGPRsForWavesPerEU: 11
; NumVGPRsForWavesPerEU: 8
; Occupancy: 10
; WaveLimiterHint : 0
; COMPUTE_PGM_RSRC2:SCRATCH_EN: 0
; COMPUTE_PGM_RSRC2:USER_SGPR: 6
; COMPUTE_PGM_RSRC2:TRAP_HANDLER: 0
; COMPUTE_PGM_RSRC2:TGID_X_EN: 1
; COMPUTE_PGM_RSRC2:TGID_Y_EN: 0
; COMPUTE_PGM_RSRC2:TGID_Z_EN: 0
; COMPUTE_PGM_RSRC2:TIDIG_COMP_CNT: 0
	.section	.text._Z25warp_store_guarded_kernelILj1024ELj4ELj32ELN6hipcub18WarpStoreAlgorithmE1EiEvPT3_S3_i,"axG",@progbits,_Z25warp_store_guarded_kernelILj1024ELj4ELj32ELN6hipcub18WarpStoreAlgorithmE1EiEvPT3_S3_i,comdat
	.protected	_Z25warp_store_guarded_kernelILj1024ELj4ELj32ELN6hipcub18WarpStoreAlgorithmE1EiEvPT3_S3_i ; -- Begin function _Z25warp_store_guarded_kernelILj1024ELj4ELj32ELN6hipcub18WarpStoreAlgorithmE1EiEvPT3_S3_i
	.globl	_Z25warp_store_guarded_kernelILj1024ELj4ELj32ELN6hipcub18WarpStoreAlgorithmE1EiEvPT3_S3_i
	.p2align	8
	.type	_Z25warp_store_guarded_kernelILj1024ELj4ELj32ELN6hipcub18WarpStoreAlgorithmE1EiEvPT3_S3_i,@function
_Z25warp_store_guarded_kernelILj1024ELj4ELj32ELN6hipcub18WarpStoreAlgorithmE1EiEvPT3_S3_i: ; @_Z25warp_store_guarded_kernelILj1024ELj4ELj32ELN6hipcub18WarpStoreAlgorithmE1EiEvPT3_S3_i
; %bb.0:
	s_load_dwordx4 s[0:3], s[4:5], 0x0
	s_load_dword s6, s[4:5], 0x10
	v_lshlrev_b32_e32 v6, 4, v0
	v_mbcnt_lo_u32_b32 v3, -1, 0
	v_mbcnt_hi_u32_b32 v3, -1, v3
	s_waitcnt lgkmcnt(0)
	global_load_dwordx3 v[0:2], v6, s[0:1] offset:4
	v_and_b32_e32 v5, 31, v3
	v_and_b32_e32 v3, 0x3e00, v6
	v_mov_b32_e32 v4, s3
	v_add_co_u32_e32 v3, vcc, s2, v3
	v_addc_co_u32_e32 v4, vcc, 0, v4, vcc
	v_lshlrev_b32_e32 v7, 2, v5
	v_add_co_u32_e32 v3, vcc, v3, v7
	v_addc_co_u32_e32 v4, vcc, 0, v4, vcc
	v_cmp_gt_u32_e32 vcc, s6, v5
	s_and_saveexec_b64 s[2:3], vcc
	s_cbranch_execz .LBB22_2
; %bb.1:
	v_mov_b32_e32 v7, s1
	v_add_co_u32_e32 v6, vcc, s0, v6
	v_addc_co_u32_e32 v7, vcc, 0, v7, vcc
	global_load_dword v6, v[6:7], off
	s_waitcnt vmcnt(0)
	global_store_dword v[3:4], v6, off
.LBB22_2:
	s_or_b64 exec, exec, s[2:3]
	v_or_b32_e32 v6, 32, v5
	v_cmp_gt_u32_e32 vcc, s6, v6
	s_and_saveexec_b64 s[0:1], vcc
	s_cbranch_execz .LBB22_4
; %bb.3:
	s_waitcnt vmcnt(0)
	global_store_dword v[3:4], v0, off offset:128
.LBB22_4:
	s_or_b64 exec, exec, s[0:1]
	s_waitcnt vmcnt(0)
	v_or_b32_e32 v0, 64, v5
	v_cmp_gt_u32_e32 vcc, s6, v0
	s_and_saveexec_b64 s[0:1], vcc
	s_cbranch_execz .LBB22_6
; %bb.5:
	global_store_dword v[3:4], v1, off offset:256
.LBB22_6:
	s_or_b64 exec, exec, s[0:1]
	v_or_b32_e32 v0, 0x60, v5
	v_cmp_gt_u32_e32 vcc, s6, v0
	s_and_saveexec_b64 s[0:1], vcc
	s_cbranch_execz .LBB22_8
; %bb.7:
	global_store_dword v[3:4], v2, off offset:384
.LBB22_8:
	s_endpgm
	.section	.rodata,"a",@progbits
	.p2align	6, 0x0
	.amdhsa_kernel _Z25warp_store_guarded_kernelILj1024ELj4ELj32ELN6hipcub18WarpStoreAlgorithmE1EiEvPT3_S3_i
		.amdhsa_group_segment_fixed_size 0
		.amdhsa_private_segment_fixed_size 0
		.amdhsa_kernarg_size 20
		.amdhsa_user_sgpr_count 6
		.amdhsa_user_sgpr_private_segment_buffer 1
		.amdhsa_user_sgpr_dispatch_ptr 0
		.amdhsa_user_sgpr_queue_ptr 0
		.amdhsa_user_sgpr_kernarg_segment_ptr 1
		.amdhsa_user_sgpr_dispatch_id 0
		.amdhsa_user_sgpr_flat_scratch_init 0
		.amdhsa_user_sgpr_private_segment_size 0
		.amdhsa_uses_dynamic_stack 0
		.amdhsa_system_sgpr_private_segment_wavefront_offset 0
		.amdhsa_system_sgpr_workgroup_id_x 1
		.amdhsa_system_sgpr_workgroup_id_y 0
		.amdhsa_system_sgpr_workgroup_id_z 0
		.amdhsa_system_sgpr_workgroup_info 0
		.amdhsa_system_vgpr_workitem_id 0
		.amdhsa_next_free_vgpr 8
		.amdhsa_next_free_sgpr 7
		.amdhsa_reserve_vcc 1
		.amdhsa_reserve_flat_scratch 0
		.amdhsa_float_round_mode_32 0
		.amdhsa_float_round_mode_16_64 0
		.amdhsa_float_denorm_mode_32 3
		.amdhsa_float_denorm_mode_16_64 3
		.amdhsa_dx10_clamp 1
		.amdhsa_ieee_mode 1
		.amdhsa_fp16_overflow 0
		.amdhsa_exception_fp_ieee_invalid_op 0
		.amdhsa_exception_fp_denorm_src 0
		.amdhsa_exception_fp_ieee_div_zero 0
		.amdhsa_exception_fp_ieee_overflow 0
		.amdhsa_exception_fp_ieee_underflow 0
		.amdhsa_exception_fp_ieee_inexact 0
		.amdhsa_exception_int_div_zero 0
	.end_amdhsa_kernel
	.section	.text._Z25warp_store_guarded_kernelILj1024ELj4ELj32ELN6hipcub18WarpStoreAlgorithmE1EiEvPT3_S3_i,"axG",@progbits,_Z25warp_store_guarded_kernelILj1024ELj4ELj32ELN6hipcub18WarpStoreAlgorithmE1EiEvPT3_S3_i,comdat
.Lfunc_end22:
	.size	_Z25warp_store_guarded_kernelILj1024ELj4ELj32ELN6hipcub18WarpStoreAlgorithmE1EiEvPT3_S3_i, .Lfunc_end22-_Z25warp_store_guarded_kernelILj1024ELj4ELj32ELN6hipcub18WarpStoreAlgorithmE1EiEvPT3_S3_i
                                        ; -- End function
	.set _Z25warp_store_guarded_kernelILj1024ELj4ELj32ELN6hipcub18WarpStoreAlgorithmE1EiEvPT3_S3_i.num_vgpr, 8
	.set _Z25warp_store_guarded_kernelILj1024ELj4ELj32ELN6hipcub18WarpStoreAlgorithmE1EiEvPT3_S3_i.num_agpr, 0
	.set _Z25warp_store_guarded_kernelILj1024ELj4ELj32ELN6hipcub18WarpStoreAlgorithmE1EiEvPT3_S3_i.numbered_sgpr, 7
	.set _Z25warp_store_guarded_kernelILj1024ELj4ELj32ELN6hipcub18WarpStoreAlgorithmE1EiEvPT3_S3_i.num_named_barrier, 0
	.set _Z25warp_store_guarded_kernelILj1024ELj4ELj32ELN6hipcub18WarpStoreAlgorithmE1EiEvPT3_S3_i.private_seg_size, 0
	.set _Z25warp_store_guarded_kernelILj1024ELj4ELj32ELN6hipcub18WarpStoreAlgorithmE1EiEvPT3_S3_i.uses_vcc, 1
	.set _Z25warp_store_guarded_kernelILj1024ELj4ELj32ELN6hipcub18WarpStoreAlgorithmE1EiEvPT3_S3_i.uses_flat_scratch, 0
	.set _Z25warp_store_guarded_kernelILj1024ELj4ELj32ELN6hipcub18WarpStoreAlgorithmE1EiEvPT3_S3_i.has_dyn_sized_stack, 0
	.set _Z25warp_store_guarded_kernelILj1024ELj4ELj32ELN6hipcub18WarpStoreAlgorithmE1EiEvPT3_S3_i.has_recursion, 0
	.set _Z25warp_store_guarded_kernelILj1024ELj4ELj32ELN6hipcub18WarpStoreAlgorithmE1EiEvPT3_S3_i.has_indirect_call, 0
	.section	.AMDGPU.csdata,"",@progbits
; Kernel info:
; codeLenInByte = 228
; TotalNumSgprs: 11
; NumVgprs: 8
; ScratchSize: 0
; MemoryBound: 0
; FloatMode: 240
; IeeeMode: 1
; LDSByteSize: 0 bytes/workgroup (compile time only)
; SGPRBlocks: 1
; VGPRBlocks: 1
; NumSGPRsForWavesPerEU: 11
; NumVGPRsForWavesPerEU: 8
; Occupancy: 10
; WaveLimiterHint : 0
; COMPUTE_PGM_RSRC2:SCRATCH_EN: 0
; COMPUTE_PGM_RSRC2:USER_SGPR: 6
; COMPUTE_PGM_RSRC2:TRAP_HANDLER: 0
; COMPUTE_PGM_RSRC2:TGID_X_EN: 1
; COMPUTE_PGM_RSRC2:TGID_Y_EN: 0
; COMPUTE_PGM_RSRC2:TGID_Z_EN: 0
; COMPUTE_PGM_RSRC2:TIDIG_COMP_CNT: 0
	.section	.text._Z25warp_store_guarded_kernelILj1024ELj4ELj32ELN6hipcub18WarpStoreAlgorithmE0EiEvPT3_S3_i,"axG",@progbits,_Z25warp_store_guarded_kernelILj1024ELj4ELj32ELN6hipcub18WarpStoreAlgorithmE0EiEvPT3_S3_i,comdat
	.protected	_Z25warp_store_guarded_kernelILj1024ELj4ELj32ELN6hipcub18WarpStoreAlgorithmE0EiEvPT3_S3_i ; -- Begin function _Z25warp_store_guarded_kernelILj1024ELj4ELj32ELN6hipcub18WarpStoreAlgorithmE0EiEvPT3_S3_i
	.globl	_Z25warp_store_guarded_kernelILj1024ELj4ELj32ELN6hipcub18WarpStoreAlgorithmE0EiEvPT3_S3_i
	.p2align	8
	.type	_Z25warp_store_guarded_kernelILj1024ELj4ELj32ELN6hipcub18WarpStoreAlgorithmE0EiEvPT3_S3_i,@function
_Z25warp_store_guarded_kernelILj1024ELj4ELj32ELN6hipcub18WarpStoreAlgorithmE0EiEvPT3_S3_i: ; @_Z25warp_store_guarded_kernelILj1024ELj4ELj32ELN6hipcub18WarpStoreAlgorithmE0EiEvPT3_S3_i
; %bb.0:
	s_load_dwordx4 s[0:3], s[4:5], 0x0
	s_load_dword s6, s[4:5], 0x10
	v_lshlrev_b32_e32 v6, 4, v0
	v_mbcnt_lo_u32_b32 v3, -1, 0
	v_mbcnt_hi_u32_b32 v3, -1, v3
	s_waitcnt lgkmcnt(0)
	global_load_dwordx3 v[0:2], v6, s[0:1] offset:4
	v_and_b32_e32 v4, 0x3e00, v6
	v_mov_b32_e32 v5, s3
	v_add_co_u32_e32 v4, vcc, s2, v4
	v_lshlrev_b32_e32 v3, 2, v3
	v_addc_co_u32_e32 v7, vcc, 0, v5, vcc
	v_and_b32_e32 v5, 0x7c, v3
	v_lshlrev_b32_e32 v3, 2, v5
	v_add_co_u32_e32 v3, vcc, v4, v3
	v_addc_co_u32_e32 v4, vcc, 0, v7, vcc
	v_cmp_gt_u32_e32 vcc, s6, v5
	s_and_saveexec_b64 s[2:3], vcc
	s_cbranch_execz .LBB23_2
; %bb.1:
	v_mov_b32_e32 v7, s1
	v_add_co_u32_e32 v6, vcc, s0, v6
	v_addc_co_u32_e32 v7, vcc, 0, v7, vcc
	global_load_dword v6, v[6:7], off
	s_waitcnt vmcnt(0)
	global_store_dword v[3:4], v6, off
.LBB23_2:
	s_or_b64 exec, exec, s[2:3]
	v_or_b32_e32 v6, 1, v5
	v_cmp_gt_u32_e32 vcc, s6, v6
	s_and_saveexec_b64 s[0:1], vcc
	s_cbranch_execz .LBB23_4
; %bb.3:
	s_waitcnt vmcnt(0)
	global_store_dword v[3:4], v0, off offset:4
.LBB23_4:
	s_or_b64 exec, exec, s[0:1]
	s_waitcnt vmcnt(0)
	v_or_b32_e32 v0, 2, v5
	v_cmp_gt_u32_e32 vcc, s6, v0
	s_and_saveexec_b64 s[0:1], vcc
	s_cbranch_execz .LBB23_6
; %bb.5:
	global_store_dword v[3:4], v1, off offset:8
.LBB23_6:
	s_or_b64 exec, exec, s[0:1]
	v_or_b32_e32 v0, 3, v5
	v_cmp_gt_u32_e32 vcc, s6, v0
	s_and_saveexec_b64 s[0:1], vcc
	s_cbranch_execz .LBB23_8
; %bb.7:
	global_store_dword v[3:4], v2, off offset:12
.LBB23_8:
	s_endpgm
	.section	.rodata,"a",@progbits
	.p2align	6, 0x0
	.amdhsa_kernel _Z25warp_store_guarded_kernelILj1024ELj4ELj32ELN6hipcub18WarpStoreAlgorithmE0EiEvPT3_S3_i
		.amdhsa_group_segment_fixed_size 0
		.amdhsa_private_segment_fixed_size 0
		.amdhsa_kernarg_size 20
		.amdhsa_user_sgpr_count 6
		.amdhsa_user_sgpr_private_segment_buffer 1
		.amdhsa_user_sgpr_dispatch_ptr 0
		.amdhsa_user_sgpr_queue_ptr 0
		.amdhsa_user_sgpr_kernarg_segment_ptr 1
		.amdhsa_user_sgpr_dispatch_id 0
		.amdhsa_user_sgpr_flat_scratch_init 0
		.amdhsa_user_sgpr_private_segment_size 0
		.amdhsa_uses_dynamic_stack 0
		.amdhsa_system_sgpr_private_segment_wavefront_offset 0
		.amdhsa_system_sgpr_workgroup_id_x 1
		.amdhsa_system_sgpr_workgroup_id_y 0
		.amdhsa_system_sgpr_workgroup_id_z 0
		.amdhsa_system_sgpr_workgroup_info 0
		.amdhsa_system_vgpr_workitem_id 0
		.amdhsa_next_free_vgpr 8
		.amdhsa_next_free_sgpr 7
		.amdhsa_reserve_vcc 1
		.amdhsa_reserve_flat_scratch 0
		.amdhsa_float_round_mode_32 0
		.amdhsa_float_round_mode_16_64 0
		.amdhsa_float_denorm_mode_32 3
		.amdhsa_float_denorm_mode_16_64 3
		.amdhsa_dx10_clamp 1
		.amdhsa_ieee_mode 1
		.amdhsa_fp16_overflow 0
		.amdhsa_exception_fp_ieee_invalid_op 0
		.amdhsa_exception_fp_denorm_src 0
		.amdhsa_exception_fp_ieee_div_zero 0
		.amdhsa_exception_fp_ieee_overflow 0
		.amdhsa_exception_fp_ieee_underflow 0
		.amdhsa_exception_fp_ieee_inexact 0
		.amdhsa_exception_int_div_zero 0
	.end_amdhsa_kernel
	.section	.text._Z25warp_store_guarded_kernelILj1024ELj4ELj32ELN6hipcub18WarpStoreAlgorithmE0EiEvPT3_S3_i,"axG",@progbits,_Z25warp_store_guarded_kernelILj1024ELj4ELj32ELN6hipcub18WarpStoreAlgorithmE0EiEvPT3_S3_i,comdat
.Lfunc_end23:
	.size	_Z25warp_store_guarded_kernelILj1024ELj4ELj32ELN6hipcub18WarpStoreAlgorithmE0EiEvPT3_S3_i, .Lfunc_end23-_Z25warp_store_guarded_kernelILj1024ELj4ELj32ELN6hipcub18WarpStoreAlgorithmE0EiEvPT3_S3_i
                                        ; -- End function
	.set _Z25warp_store_guarded_kernelILj1024ELj4ELj32ELN6hipcub18WarpStoreAlgorithmE0EiEvPT3_S3_i.num_vgpr, 8
	.set _Z25warp_store_guarded_kernelILj1024ELj4ELj32ELN6hipcub18WarpStoreAlgorithmE0EiEvPT3_S3_i.num_agpr, 0
	.set _Z25warp_store_guarded_kernelILj1024ELj4ELj32ELN6hipcub18WarpStoreAlgorithmE0EiEvPT3_S3_i.numbered_sgpr, 7
	.set _Z25warp_store_guarded_kernelILj1024ELj4ELj32ELN6hipcub18WarpStoreAlgorithmE0EiEvPT3_S3_i.num_named_barrier, 0
	.set _Z25warp_store_guarded_kernelILj1024ELj4ELj32ELN6hipcub18WarpStoreAlgorithmE0EiEvPT3_S3_i.private_seg_size, 0
	.set _Z25warp_store_guarded_kernelILj1024ELj4ELj32ELN6hipcub18WarpStoreAlgorithmE0EiEvPT3_S3_i.uses_vcc, 1
	.set _Z25warp_store_guarded_kernelILj1024ELj4ELj32ELN6hipcub18WarpStoreAlgorithmE0EiEvPT3_S3_i.uses_flat_scratch, 0
	.set _Z25warp_store_guarded_kernelILj1024ELj4ELj32ELN6hipcub18WarpStoreAlgorithmE0EiEvPT3_S3_i.has_dyn_sized_stack, 0
	.set _Z25warp_store_guarded_kernelILj1024ELj4ELj32ELN6hipcub18WarpStoreAlgorithmE0EiEvPT3_S3_i.has_recursion, 0
	.set _Z25warp_store_guarded_kernelILj1024ELj4ELj32ELN6hipcub18WarpStoreAlgorithmE0EiEvPT3_S3_i.has_indirect_call, 0
	.section	.AMDGPU.csdata,"",@progbits
; Kernel info:
; codeLenInByte = 232
; TotalNumSgprs: 11
; NumVgprs: 8
; ScratchSize: 0
; MemoryBound: 0
; FloatMode: 240
; IeeeMode: 1
; LDSByteSize: 0 bytes/workgroup (compile time only)
; SGPRBlocks: 1
; VGPRBlocks: 1
; NumSGPRsForWavesPerEU: 11
; NumVGPRsForWavesPerEU: 8
; Occupancy: 10
; WaveLimiterHint : 0
; COMPUTE_PGM_RSRC2:SCRATCH_EN: 0
; COMPUTE_PGM_RSRC2:USER_SGPR: 6
; COMPUTE_PGM_RSRC2:TRAP_HANDLER: 0
; COMPUTE_PGM_RSRC2:TGID_X_EN: 1
; COMPUTE_PGM_RSRC2:TGID_Y_EN: 0
; COMPUTE_PGM_RSRC2:TGID_Z_EN: 0
; COMPUTE_PGM_RSRC2:TIDIG_COMP_CNT: 0
	.section	.text._Z25warp_store_guarded_kernelILj1024ELj4ELj16ELN6hipcub18WarpStoreAlgorithmE3EiEvPT3_S3_i,"axG",@progbits,_Z25warp_store_guarded_kernelILj1024ELj4ELj16ELN6hipcub18WarpStoreAlgorithmE3EiEvPT3_S3_i,comdat
	.protected	_Z25warp_store_guarded_kernelILj1024ELj4ELj16ELN6hipcub18WarpStoreAlgorithmE3EiEvPT3_S3_i ; -- Begin function _Z25warp_store_guarded_kernelILj1024ELj4ELj16ELN6hipcub18WarpStoreAlgorithmE3EiEvPT3_S3_i
	.globl	_Z25warp_store_guarded_kernelILj1024ELj4ELj16ELN6hipcub18WarpStoreAlgorithmE3EiEvPT3_S3_i
	.p2align	8
	.type	_Z25warp_store_guarded_kernelILj1024ELj4ELj16ELN6hipcub18WarpStoreAlgorithmE3EiEvPT3_S3_i,@function
_Z25warp_store_guarded_kernelILj1024ELj4ELj16ELN6hipcub18WarpStoreAlgorithmE3EiEvPT3_S3_i: ; @_Z25warp_store_guarded_kernelILj1024ELj4ELj16ELN6hipcub18WarpStoreAlgorithmE3EiEvPT3_S3_i
; %bb.0:
	s_load_dwordx4 s[8:11], s[4:5], 0x0
	s_load_dword s2, s[4:5], 0x10
	v_lshlrev_b32_e32 v4, 4, v0
	v_mbcnt_lo_u32_b32 v5, -1, 0
	v_mbcnt_hi_u32_b32 v5, -1, v5
	s_waitcnt lgkmcnt(0)
	global_load_dwordx4 v[0:3], v4, s[8:9]
	v_and_b32_e32 v7, 0x3f00, v4
	v_and_b32_e32 v4, 15, v5
	v_lshl_or_b32 v6, v4, 4, v7
	v_mad_i32_i24 v5, v4, -12, v6
	v_mov_b32_e32 v9, s11
	v_add_co_u32_e32 v7, vcc, s10, v7
	v_lshlrev_b32_e32 v8, 2, v4
	v_addc_co_u32_e32 v9, vcc, 0, v9, vcc
	s_waitcnt vmcnt(0)
	ds_write_b128 v6, v[0:3]
	; wave barrier
	ds_read2_b32 v[2:3], v5 offset0:16 offset1:32
	ds_read_b32 v5, v5 offset:192
	v_add_co_u32_e32 v0, vcc, v7, v8
	v_addc_co_u32_e32 v1, vcc, 0, v9, vcc
	v_cmp_gt_u32_e32 vcc, s2, v4
	s_and_saveexec_b64 s[0:1], vcc
	s_cbranch_execz .LBB24_2
; %bb.1:
	v_mul_i32_i24_e32 v7, -12, v4
	v_add_u32_e32 v6, v6, v7
	ds_read_b32 v6, v6
	s_waitcnt lgkmcnt(0)
	global_store_dword v[0:1], v6, off
.LBB24_2:
	s_or_b64 exec, exec, s[0:1]
	v_or_b32_e32 v6, 16, v4
	v_cmp_gt_u32_e32 vcc, s2, v6
	s_and_saveexec_b64 s[0:1], vcc
	s_cbranch_execz .LBB24_4
; %bb.3:
	s_waitcnt lgkmcnt(1)
	global_store_dword v[0:1], v2, off offset:64
.LBB24_4:
	s_or_b64 exec, exec, s[0:1]
	s_waitcnt lgkmcnt(1)
	v_or_b32_e32 v2, 32, v4
	v_cmp_gt_u32_e32 vcc, s2, v2
	s_and_saveexec_b64 s[0:1], vcc
	s_cbranch_execz .LBB24_6
; %bb.5:
	global_store_dword v[0:1], v3, off offset:128
.LBB24_6:
	s_or_b64 exec, exec, s[0:1]
	v_or_b32_e32 v2, 48, v4
	v_cmp_gt_u32_e32 vcc, s2, v2
	s_and_saveexec_b64 s[0:1], vcc
	s_cbranch_execz .LBB24_8
; %bb.7:
	s_waitcnt lgkmcnt(0)
	global_store_dword v[0:1], v5, off offset:192
.LBB24_8:
	s_endpgm
	.section	.rodata,"a",@progbits
	.p2align	6, 0x0
	.amdhsa_kernel _Z25warp_store_guarded_kernelILj1024ELj4ELj16ELN6hipcub18WarpStoreAlgorithmE3EiEvPT3_S3_i
		.amdhsa_group_segment_fixed_size 16384
		.amdhsa_private_segment_fixed_size 0
		.amdhsa_kernarg_size 20
		.amdhsa_user_sgpr_count 6
		.amdhsa_user_sgpr_private_segment_buffer 1
		.amdhsa_user_sgpr_dispatch_ptr 0
		.amdhsa_user_sgpr_queue_ptr 0
		.amdhsa_user_sgpr_kernarg_segment_ptr 1
		.amdhsa_user_sgpr_dispatch_id 0
		.amdhsa_user_sgpr_flat_scratch_init 0
		.amdhsa_user_sgpr_private_segment_size 0
		.amdhsa_uses_dynamic_stack 0
		.amdhsa_system_sgpr_private_segment_wavefront_offset 0
		.amdhsa_system_sgpr_workgroup_id_x 1
		.amdhsa_system_sgpr_workgroup_id_y 0
		.amdhsa_system_sgpr_workgroup_id_z 0
		.amdhsa_system_sgpr_workgroup_info 0
		.amdhsa_system_vgpr_workitem_id 0
		.amdhsa_next_free_vgpr 29
		.amdhsa_next_free_sgpr 61
		.amdhsa_reserve_vcc 1
		.amdhsa_reserve_flat_scratch 0
		.amdhsa_float_round_mode_32 0
		.amdhsa_float_round_mode_16_64 0
		.amdhsa_float_denorm_mode_32 3
		.amdhsa_float_denorm_mode_16_64 3
		.amdhsa_dx10_clamp 1
		.amdhsa_ieee_mode 1
		.amdhsa_fp16_overflow 0
		.amdhsa_exception_fp_ieee_invalid_op 0
		.amdhsa_exception_fp_denorm_src 0
		.amdhsa_exception_fp_ieee_div_zero 0
		.amdhsa_exception_fp_ieee_overflow 0
		.amdhsa_exception_fp_ieee_underflow 0
		.amdhsa_exception_fp_ieee_inexact 0
		.amdhsa_exception_int_div_zero 0
	.end_amdhsa_kernel
	.section	.text._Z25warp_store_guarded_kernelILj1024ELj4ELj16ELN6hipcub18WarpStoreAlgorithmE3EiEvPT3_S3_i,"axG",@progbits,_Z25warp_store_guarded_kernelILj1024ELj4ELj16ELN6hipcub18WarpStoreAlgorithmE3EiEvPT3_S3_i,comdat
.Lfunc_end24:
	.size	_Z25warp_store_guarded_kernelILj1024ELj4ELj16ELN6hipcub18WarpStoreAlgorithmE3EiEvPT3_S3_i, .Lfunc_end24-_Z25warp_store_guarded_kernelILj1024ELj4ELj16ELN6hipcub18WarpStoreAlgorithmE3EiEvPT3_S3_i
                                        ; -- End function
	.set _Z25warp_store_guarded_kernelILj1024ELj4ELj16ELN6hipcub18WarpStoreAlgorithmE3EiEvPT3_S3_i.num_vgpr, 10
	.set _Z25warp_store_guarded_kernelILj1024ELj4ELj16ELN6hipcub18WarpStoreAlgorithmE3EiEvPT3_S3_i.num_agpr, 0
	.set _Z25warp_store_guarded_kernelILj1024ELj4ELj16ELN6hipcub18WarpStoreAlgorithmE3EiEvPT3_S3_i.numbered_sgpr, 12
	.set _Z25warp_store_guarded_kernelILj1024ELj4ELj16ELN6hipcub18WarpStoreAlgorithmE3EiEvPT3_S3_i.num_named_barrier, 0
	.set _Z25warp_store_guarded_kernelILj1024ELj4ELj16ELN6hipcub18WarpStoreAlgorithmE3EiEvPT3_S3_i.private_seg_size, 0
	.set _Z25warp_store_guarded_kernelILj1024ELj4ELj16ELN6hipcub18WarpStoreAlgorithmE3EiEvPT3_S3_i.uses_vcc, 1
	.set _Z25warp_store_guarded_kernelILj1024ELj4ELj16ELN6hipcub18WarpStoreAlgorithmE3EiEvPT3_S3_i.uses_flat_scratch, 0
	.set _Z25warp_store_guarded_kernelILj1024ELj4ELj16ELN6hipcub18WarpStoreAlgorithmE3EiEvPT3_S3_i.has_dyn_sized_stack, 0
	.set _Z25warp_store_guarded_kernelILj1024ELj4ELj16ELN6hipcub18WarpStoreAlgorithmE3EiEvPT3_S3_i.has_recursion, 0
	.set _Z25warp_store_guarded_kernelILj1024ELj4ELj16ELN6hipcub18WarpStoreAlgorithmE3EiEvPT3_S3_i.has_indirect_call, 0
	.section	.AMDGPU.csdata,"",@progbits
; Kernel info:
; codeLenInByte = 268
; TotalNumSgprs: 16
; NumVgprs: 10
; ScratchSize: 0
; MemoryBound: 0
; FloatMode: 240
; IeeeMode: 1
; LDSByteSize: 16384 bytes/workgroup (compile time only)
; SGPRBlocks: 8
; VGPRBlocks: 7
; NumSGPRsForWavesPerEU: 65
; NumVGPRsForWavesPerEU: 29
; Occupancy: 8
; WaveLimiterHint : 0
; COMPUTE_PGM_RSRC2:SCRATCH_EN: 0
; COMPUTE_PGM_RSRC2:USER_SGPR: 6
; COMPUTE_PGM_RSRC2:TRAP_HANDLER: 0
; COMPUTE_PGM_RSRC2:TGID_X_EN: 1
; COMPUTE_PGM_RSRC2:TGID_Y_EN: 0
; COMPUTE_PGM_RSRC2:TGID_Z_EN: 0
; COMPUTE_PGM_RSRC2:TIDIG_COMP_CNT: 0
	.section	.text._Z25warp_store_guarded_kernelILj1024ELj4ELj16ELN6hipcub18WarpStoreAlgorithmE2EiEvPT3_S3_i,"axG",@progbits,_Z25warp_store_guarded_kernelILj1024ELj4ELj16ELN6hipcub18WarpStoreAlgorithmE2EiEvPT3_S3_i,comdat
	.protected	_Z25warp_store_guarded_kernelILj1024ELj4ELj16ELN6hipcub18WarpStoreAlgorithmE2EiEvPT3_S3_i ; -- Begin function _Z25warp_store_guarded_kernelILj1024ELj4ELj16ELN6hipcub18WarpStoreAlgorithmE2EiEvPT3_S3_i
	.globl	_Z25warp_store_guarded_kernelILj1024ELj4ELj16ELN6hipcub18WarpStoreAlgorithmE2EiEvPT3_S3_i
	.p2align	8
	.type	_Z25warp_store_guarded_kernelILj1024ELj4ELj16ELN6hipcub18WarpStoreAlgorithmE2EiEvPT3_S3_i,@function
_Z25warp_store_guarded_kernelILj1024ELj4ELj16ELN6hipcub18WarpStoreAlgorithmE2EiEvPT3_S3_i: ; @_Z25warp_store_guarded_kernelILj1024ELj4ELj16ELN6hipcub18WarpStoreAlgorithmE2EiEvPT3_S3_i
; %bb.0:
	s_load_dwordx4 s[0:3], s[4:5], 0x0
	s_load_dword s6, s[4:5], 0x10
	v_lshlrev_b32_e32 v6, 4, v0
	v_mbcnt_lo_u32_b32 v3, -1, 0
	v_mbcnt_hi_u32_b32 v3, -1, v3
	s_waitcnt lgkmcnt(0)
	global_load_dwordx3 v[0:2], v6, s[0:1] offset:4
	v_and_b32_e32 v4, 0x3f00, v6
	v_mov_b32_e32 v5, s3
	v_add_co_u32_e32 v4, vcc, s2, v4
	v_lshlrev_b32_e32 v3, 2, v3
	v_addc_co_u32_e32 v7, vcc, 0, v5, vcc
	v_and_b32_e32 v5, 60, v3
	v_lshlrev_b32_e32 v3, 2, v5
	v_add_co_u32_e32 v3, vcc, v4, v3
	v_addc_co_u32_e32 v4, vcc, 0, v7, vcc
	v_cmp_gt_u32_e32 vcc, s6, v5
	s_and_saveexec_b64 s[2:3], vcc
	s_cbranch_execz .LBB25_2
; %bb.1:
	v_mov_b32_e32 v7, s1
	v_add_co_u32_e32 v6, vcc, s0, v6
	v_addc_co_u32_e32 v7, vcc, 0, v7, vcc
	global_load_dword v6, v[6:7], off
	s_waitcnt vmcnt(0)
	global_store_dword v[3:4], v6, off
.LBB25_2:
	s_or_b64 exec, exec, s[2:3]
	v_or_b32_e32 v6, 1, v5
	v_cmp_gt_u32_e32 vcc, s6, v6
	s_and_saveexec_b64 s[0:1], vcc
	s_cbranch_execz .LBB25_4
; %bb.3:
	s_waitcnt vmcnt(0)
	global_store_dword v[3:4], v0, off offset:4
.LBB25_4:
	s_or_b64 exec, exec, s[0:1]
	s_waitcnt vmcnt(0)
	v_or_b32_e32 v0, 2, v5
	v_cmp_gt_u32_e32 vcc, s6, v0
	s_and_saveexec_b64 s[0:1], vcc
	s_cbranch_execz .LBB25_6
; %bb.5:
	global_store_dword v[3:4], v1, off offset:8
.LBB25_6:
	s_or_b64 exec, exec, s[0:1]
	v_or_b32_e32 v0, 3, v5
	v_cmp_gt_u32_e32 vcc, s6, v0
	s_and_saveexec_b64 s[0:1], vcc
	s_cbranch_execz .LBB25_8
; %bb.7:
	global_store_dword v[3:4], v2, off offset:12
.LBB25_8:
	s_endpgm
	.section	.rodata,"a",@progbits
	.p2align	6, 0x0
	.amdhsa_kernel _Z25warp_store_guarded_kernelILj1024ELj4ELj16ELN6hipcub18WarpStoreAlgorithmE2EiEvPT3_S3_i
		.amdhsa_group_segment_fixed_size 0
		.amdhsa_private_segment_fixed_size 0
		.amdhsa_kernarg_size 20
		.amdhsa_user_sgpr_count 6
		.amdhsa_user_sgpr_private_segment_buffer 1
		.amdhsa_user_sgpr_dispatch_ptr 0
		.amdhsa_user_sgpr_queue_ptr 0
		.amdhsa_user_sgpr_kernarg_segment_ptr 1
		.amdhsa_user_sgpr_dispatch_id 0
		.amdhsa_user_sgpr_flat_scratch_init 0
		.amdhsa_user_sgpr_private_segment_size 0
		.amdhsa_uses_dynamic_stack 0
		.amdhsa_system_sgpr_private_segment_wavefront_offset 0
		.amdhsa_system_sgpr_workgroup_id_x 1
		.amdhsa_system_sgpr_workgroup_id_y 0
		.amdhsa_system_sgpr_workgroup_id_z 0
		.amdhsa_system_sgpr_workgroup_info 0
		.amdhsa_system_vgpr_workitem_id 0
		.amdhsa_next_free_vgpr 8
		.amdhsa_next_free_sgpr 7
		.amdhsa_reserve_vcc 1
		.amdhsa_reserve_flat_scratch 0
		.amdhsa_float_round_mode_32 0
		.amdhsa_float_round_mode_16_64 0
		.amdhsa_float_denorm_mode_32 3
		.amdhsa_float_denorm_mode_16_64 3
		.amdhsa_dx10_clamp 1
		.amdhsa_ieee_mode 1
		.amdhsa_fp16_overflow 0
		.amdhsa_exception_fp_ieee_invalid_op 0
		.amdhsa_exception_fp_denorm_src 0
		.amdhsa_exception_fp_ieee_div_zero 0
		.amdhsa_exception_fp_ieee_overflow 0
		.amdhsa_exception_fp_ieee_underflow 0
		.amdhsa_exception_fp_ieee_inexact 0
		.amdhsa_exception_int_div_zero 0
	.end_amdhsa_kernel
	.section	.text._Z25warp_store_guarded_kernelILj1024ELj4ELj16ELN6hipcub18WarpStoreAlgorithmE2EiEvPT3_S3_i,"axG",@progbits,_Z25warp_store_guarded_kernelILj1024ELj4ELj16ELN6hipcub18WarpStoreAlgorithmE2EiEvPT3_S3_i,comdat
.Lfunc_end25:
	.size	_Z25warp_store_guarded_kernelILj1024ELj4ELj16ELN6hipcub18WarpStoreAlgorithmE2EiEvPT3_S3_i, .Lfunc_end25-_Z25warp_store_guarded_kernelILj1024ELj4ELj16ELN6hipcub18WarpStoreAlgorithmE2EiEvPT3_S3_i
                                        ; -- End function
	.set _Z25warp_store_guarded_kernelILj1024ELj4ELj16ELN6hipcub18WarpStoreAlgorithmE2EiEvPT3_S3_i.num_vgpr, 8
	.set _Z25warp_store_guarded_kernelILj1024ELj4ELj16ELN6hipcub18WarpStoreAlgorithmE2EiEvPT3_S3_i.num_agpr, 0
	.set _Z25warp_store_guarded_kernelILj1024ELj4ELj16ELN6hipcub18WarpStoreAlgorithmE2EiEvPT3_S3_i.numbered_sgpr, 7
	.set _Z25warp_store_guarded_kernelILj1024ELj4ELj16ELN6hipcub18WarpStoreAlgorithmE2EiEvPT3_S3_i.num_named_barrier, 0
	.set _Z25warp_store_guarded_kernelILj1024ELj4ELj16ELN6hipcub18WarpStoreAlgorithmE2EiEvPT3_S3_i.private_seg_size, 0
	.set _Z25warp_store_guarded_kernelILj1024ELj4ELj16ELN6hipcub18WarpStoreAlgorithmE2EiEvPT3_S3_i.uses_vcc, 1
	.set _Z25warp_store_guarded_kernelILj1024ELj4ELj16ELN6hipcub18WarpStoreAlgorithmE2EiEvPT3_S3_i.uses_flat_scratch, 0
	.set _Z25warp_store_guarded_kernelILj1024ELj4ELj16ELN6hipcub18WarpStoreAlgorithmE2EiEvPT3_S3_i.has_dyn_sized_stack, 0
	.set _Z25warp_store_guarded_kernelILj1024ELj4ELj16ELN6hipcub18WarpStoreAlgorithmE2EiEvPT3_S3_i.has_recursion, 0
	.set _Z25warp_store_guarded_kernelILj1024ELj4ELj16ELN6hipcub18WarpStoreAlgorithmE2EiEvPT3_S3_i.has_indirect_call, 0
	.section	.AMDGPU.csdata,"",@progbits
; Kernel info:
; codeLenInByte = 228
; TotalNumSgprs: 11
; NumVgprs: 8
; ScratchSize: 0
; MemoryBound: 0
; FloatMode: 240
; IeeeMode: 1
; LDSByteSize: 0 bytes/workgroup (compile time only)
; SGPRBlocks: 1
; VGPRBlocks: 1
; NumSGPRsForWavesPerEU: 11
; NumVGPRsForWavesPerEU: 8
; Occupancy: 10
; WaveLimiterHint : 0
; COMPUTE_PGM_RSRC2:SCRATCH_EN: 0
; COMPUTE_PGM_RSRC2:USER_SGPR: 6
; COMPUTE_PGM_RSRC2:TRAP_HANDLER: 0
; COMPUTE_PGM_RSRC2:TGID_X_EN: 1
; COMPUTE_PGM_RSRC2:TGID_Y_EN: 0
; COMPUTE_PGM_RSRC2:TGID_Z_EN: 0
; COMPUTE_PGM_RSRC2:TIDIG_COMP_CNT: 0
	.section	.text._Z25warp_store_guarded_kernelILj1024ELj4ELj16ELN6hipcub18WarpStoreAlgorithmE1EiEvPT3_S3_i,"axG",@progbits,_Z25warp_store_guarded_kernelILj1024ELj4ELj16ELN6hipcub18WarpStoreAlgorithmE1EiEvPT3_S3_i,comdat
	.protected	_Z25warp_store_guarded_kernelILj1024ELj4ELj16ELN6hipcub18WarpStoreAlgorithmE1EiEvPT3_S3_i ; -- Begin function _Z25warp_store_guarded_kernelILj1024ELj4ELj16ELN6hipcub18WarpStoreAlgorithmE1EiEvPT3_S3_i
	.globl	_Z25warp_store_guarded_kernelILj1024ELj4ELj16ELN6hipcub18WarpStoreAlgorithmE1EiEvPT3_S3_i
	.p2align	8
	.type	_Z25warp_store_guarded_kernelILj1024ELj4ELj16ELN6hipcub18WarpStoreAlgorithmE1EiEvPT3_S3_i,@function
_Z25warp_store_guarded_kernelILj1024ELj4ELj16ELN6hipcub18WarpStoreAlgorithmE1EiEvPT3_S3_i: ; @_Z25warp_store_guarded_kernelILj1024ELj4ELj16ELN6hipcub18WarpStoreAlgorithmE1EiEvPT3_S3_i
; %bb.0:
	s_load_dwordx4 s[0:3], s[4:5], 0x0
	s_load_dword s6, s[4:5], 0x10
	v_lshlrev_b32_e32 v6, 4, v0
	v_mbcnt_lo_u32_b32 v3, -1, 0
	v_mbcnt_hi_u32_b32 v3, -1, v3
	s_waitcnt lgkmcnt(0)
	global_load_dwordx3 v[0:2], v6, s[0:1] offset:4
	v_and_b32_e32 v5, 15, v3
	v_and_b32_e32 v3, 0x3f00, v6
	v_mov_b32_e32 v4, s3
	v_add_co_u32_e32 v3, vcc, s2, v3
	v_addc_co_u32_e32 v4, vcc, 0, v4, vcc
	v_lshlrev_b32_e32 v7, 2, v5
	v_add_co_u32_e32 v3, vcc, v3, v7
	v_addc_co_u32_e32 v4, vcc, 0, v4, vcc
	v_cmp_gt_u32_e32 vcc, s6, v5
	s_and_saveexec_b64 s[2:3], vcc
	s_cbranch_execz .LBB26_2
; %bb.1:
	v_mov_b32_e32 v7, s1
	v_add_co_u32_e32 v6, vcc, s0, v6
	v_addc_co_u32_e32 v7, vcc, 0, v7, vcc
	global_load_dword v6, v[6:7], off
	s_waitcnt vmcnt(0)
	global_store_dword v[3:4], v6, off
.LBB26_2:
	s_or_b64 exec, exec, s[2:3]
	v_or_b32_e32 v6, 16, v5
	v_cmp_gt_u32_e32 vcc, s6, v6
	s_and_saveexec_b64 s[0:1], vcc
	s_cbranch_execz .LBB26_4
; %bb.3:
	s_waitcnt vmcnt(0)
	global_store_dword v[3:4], v0, off offset:64
.LBB26_4:
	s_or_b64 exec, exec, s[0:1]
	s_waitcnt vmcnt(0)
	v_or_b32_e32 v0, 32, v5
	v_cmp_gt_u32_e32 vcc, s6, v0
	s_and_saveexec_b64 s[0:1], vcc
	s_cbranch_execz .LBB26_6
; %bb.5:
	global_store_dword v[3:4], v1, off offset:128
.LBB26_6:
	s_or_b64 exec, exec, s[0:1]
	v_or_b32_e32 v0, 48, v5
	v_cmp_gt_u32_e32 vcc, s6, v0
	s_and_saveexec_b64 s[0:1], vcc
	s_cbranch_execz .LBB26_8
; %bb.7:
	global_store_dword v[3:4], v2, off offset:192
.LBB26_8:
	s_endpgm
	.section	.rodata,"a",@progbits
	.p2align	6, 0x0
	.amdhsa_kernel _Z25warp_store_guarded_kernelILj1024ELj4ELj16ELN6hipcub18WarpStoreAlgorithmE1EiEvPT3_S3_i
		.amdhsa_group_segment_fixed_size 0
		.amdhsa_private_segment_fixed_size 0
		.amdhsa_kernarg_size 20
		.amdhsa_user_sgpr_count 6
		.amdhsa_user_sgpr_private_segment_buffer 1
		.amdhsa_user_sgpr_dispatch_ptr 0
		.amdhsa_user_sgpr_queue_ptr 0
		.amdhsa_user_sgpr_kernarg_segment_ptr 1
		.amdhsa_user_sgpr_dispatch_id 0
		.amdhsa_user_sgpr_flat_scratch_init 0
		.amdhsa_user_sgpr_private_segment_size 0
		.amdhsa_uses_dynamic_stack 0
		.amdhsa_system_sgpr_private_segment_wavefront_offset 0
		.amdhsa_system_sgpr_workgroup_id_x 1
		.amdhsa_system_sgpr_workgroup_id_y 0
		.amdhsa_system_sgpr_workgroup_id_z 0
		.amdhsa_system_sgpr_workgroup_info 0
		.amdhsa_system_vgpr_workitem_id 0
		.amdhsa_next_free_vgpr 8
		.amdhsa_next_free_sgpr 7
		.amdhsa_reserve_vcc 1
		.amdhsa_reserve_flat_scratch 0
		.amdhsa_float_round_mode_32 0
		.amdhsa_float_round_mode_16_64 0
		.amdhsa_float_denorm_mode_32 3
		.amdhsa_float_denorm_mode_16_64 3
		.amdhsa_dx10_clamp 1
		.amdhsa_ieee_mode 1
		.amdhsa_fp16_overflow 0
		.amdhsa_exception_fp_ieee_invalid_op 0
		.amdhsa_exception_fp_denorm_src 0
		.amdhsa_exception_fp_ieee_div_zero 0
		.amdhsa_exception_fp_ieee_overflow 0
		.amdhsa_exception_fp_ieee_underflow 0
		.amdhsa_exception_fp_ieee_inexact 0
		.amdhsa_exception_int_div_zero 0
	.end_amdhsa_kernel
	.section	.text._Z25warp_store_guarded_kernelILj1024ELj4ELj16ELN6hipcub18WarpStoreAlgorithmE1EiEvPT3_S3_i,"axG",@progbits,_Z25warp_store_guarded_kernelILj1024ELj4ELj16ELN6hipcub18WarpStoreAlgorithmE1EiEvPT3_S3_i,comdat
.Lfunc_end26:
	.size	_Z25warp_store_guarded_kernelILj1024ELj4ELj16ELN6hipcub18WarpStoreAlgorithmE1EiEvPT3_S3_i, .Lfunc_end26-_Z25warp_store_guarded_kernelILj1024ELj4ELj16ELN6hipcub18WarpStoreAlgorithmE1EiEvPT3_S3_i
                                        ; -- End function
	.set _Z25warp_store_guarded_kernelILj1024ELj4ELj16ELN6hipcub18WarpStoreAlgorithmE1EiEvPT3_S3_i.num_vgpr, 8
	.set _Z25warp_store_guarded_kernelILj1024ELj4ELj16ELN6hipcub18WarpStoreAlgorithmE1EiEvPT3_S3_i.num_agpr, 0
	.set _Z25warp_store_guarded_kernelILj1024ELj4ELj16ELN6hipcub18WarpStoreAlgorithmE1EiEvPT3_S3_i.numbered_sgpr, 7
	.set _Z25warp_store_guarded_kernelILj1024ELj4ELj16ELN6hipcub18WarpStoreAlgorithmE1EiEvPT3_S3_i.num_named_barrier, 0
	.set _Z25warp_store_guarded_kernelILj1024ELj4ELj16ELN6hipcub18WarpStoreAlgorithmE1EiEvPT3_S3_i.private_seg_size, 0
	.set _Z25warp_store_guarded_kernelILj1024ELj4ELj16ELN6hipcub18WarpStoreAlgorithmE1EiEvPT3_S3_i.uses_vcc, 1
	.set _Z25warp_store_guarded_kernelILj1024ELj4ELj16ELN6hipcub18WarpStoreAlgorithmE1EiEvPT3_S3_i.uses_flat_scratch, 0
	.set _Z25warp_store_guarded_kernelILj1024ELj4ELj16ELN6hipcub18WarpStoreAlgorithmE1EiEvPT3_S3_i.has_dyn_sized_stack, 0
	.set _Z25warp_store_guarded_kernelILj1024ELj4ELj16ELN6hipcub18WarpStoreAlgorithmE1EiEvPT3_S3_i.has_recursion, 0
	.set _Z25warp_store_guarded_kernelILj1024ELj4ELj16ELN6hipcub18WarpStoreAlgorithmE1EiEvPT3_S3_i.has_indirect_call, 0
	.section	.AMDGPU.csdata,"",@progbits
; Kernel info:
; codeLenInByte = 224
; TotalNumSgprs: 11
; NumVgprs: 8
; ScratchSize: 0
; MemoryBound: 0
; FloatMode: 240
; IeeeMode: 1
; LDSByteSize: 0 bytes/workgroup (compile time only)
; SGPRBlocks: 1
; VGPRBlocks: 1
; NumSGPRsForWavesPerEU: 11
; NumVGPRsForWavesPerEU: 8
; Occupancy: 10
; WaveLimiterHint : 0
; COMPUTE_PGM_RSRC2:SCRATCH_EN: 0
; COMPUTE_PGM_RSRC2:USER_SGPR: 6
; COMPUTE_PGM_RSRC2:TRAP_HANDLER: 0
; COMPUTE_PGM_RSRC2:TGID_X_EN: 1
; COMPUTE_PGM_RSRC2:TGID_Y_EN: 0
; COMPUTE_PGM_RSRC2:TGID_Z_EN: 0
; COMPUTE_PGM_RSRC2:TIDIG_COMP_CNT: 0
	.section	.text._Z25warp_store_guarded_kernelILj1024ELj4ELj16ELN6hipcub18WarpStoreAlgorithmE0EiEvPT3_S3_i,"axG",@progbits,_Z25warp_store_guarded_kernelILj1024ELj4ELj16ELN6hipcub18WarpStoreAlgorithmE0EiEvPT3_S3_i,comdat
	.protected	_Z25warp_store_guarded_kernelILj1024ELj4ELj16ELN6hipcub18WarpStoreAlgorithmE0EiEvPT3_S3_i ; -- Begin function _Z25warp_store_guarded_kernelILj1024ELj4ELj16ELN6hipcub18WarpStoreAlgorithmE0EiEvPT3_S3_i
	.globl	_Z25warp_store_guarded_kernelILj1024ELj4ELj16ELN6hipcub18WarpStoreAlgorithmE0EiEvPT3_S3_i
	.p2align	8
	.type	_Z25warp_store_guarded_kernelILj1024ELj4ELj16ELN6hipcub18WarpStoreAlgorithmE0EiEvPT3_S3_i,@function
_Z25warp_store_guarded_kernelILj1024ELj4ELj16ELN6hipcub18WarpStoreAlgorithmE0EiEvPT3_S3_i: ; @_Z25warp_store_guarded_kernelILj1024ELj4ELj16ELN6hipcub18WarpStoreAlgorithmE0EiEvPT3_S3_i
; %bb.0:
	s_load_dwordx4 s[0:3], s[4:5], 0x0
	s_load_dword s6, s[4:5], 0x10
	v_lshlrev_b32_e32 v6, 4, v0
	v_mbcnt_lo_u32_b32 v3, -1, 0
	v_mbcnt_hi_u32_b32 v3, -1, v3
	s_waitcnt lgkmcnt(0)
	global_load_dwordx3 v[0:2], v6, s[0:1] offset:4
	v_and_b32_e32 v4, 0x3f00, v6
	v_mov_b32_e32 v5, s3
	v_add_co_u32_e32 v4, vcc, s2, v4
	v_lshlrev_b32_e32 v3, 2, v3
	v_addc_co_u32_e32 v7, vcc, 0, v5, vcc
	v_and_b32_e32 v5, 60, v3
	v_lshlrev_b32_e32 v3, 2, v5
	v_add_co_u32_e32 v3, vcc, v4, v3
	v_addc_co_u32_e32 v4, vcc, 0, v7, vcc
	v_cmp_gt_u32_e32 vcc, s6, v5
	s_and_saveexec_b64 s[2:3], vcc
	s_cbranch_execz .LBB27_2
; %bb.1:
	v_mov_b32_e32 v7, s1
	v_add_co_u32_e32 v6, vcc, s0, v6
	v_addc_co_u32_e32 v7, vcc, 0, v7, vcc
	global_load_dword v6, v[6:7], off
	s_waitcnt vmcnt(0)
	global_store_dword v[3:4], v6, off
.LBB27_2:
	s_or_b64 exec, exec, s[2:3]
	v_or_b32_e32 v6, 1, v5
	v_cmp_gt_u32_e32 vcc, s6, v6
	s_and_saveexec_b64 s[0:1], vcc
	s_cbranch_execz .LBB27_4
; %bb.3:
	s_waitcnt vmcnt(0)
	global_store_dword v[3:4], v0, off offset:4
.LBB27_4:
	s_or_b64 exec, exec, s[0:1]
	s_waitcnt vmcnt(0)
	v_or_b32_e32 v0, 2, v5
	v_cmp_gt_u32_e32 vcc, s6, v0
	s_and_saveexec_b64 s[0:1], vcc
	s_cbranch_execz .LBB27_6
; %bb.5:
	global_store_dword v[3:4], v1, off offset:8
.LBB27_6:
	s_or_b64 exec, exec, s[0:1]
	v_or_b32_e32 v0, 3, v5
	v_cmp_gt_u32_e32 vcc, s6, v0
	s_and_saveexec_b64 s[0:1], vcc
	s_cbranch_execz .LBB27_8
; %bb.7:
	global_store_dword v[3:4], v2, off offset:12
.LBB27_8:
	s_endpgm
	.section	.rodata,"a",@progbits
	.p2align	6, 0x0
	.amdhsa_kernel _Z25warp_store_guarded_kernelILj1024ELj4ELj16ELN6hipcub18WarpStoreAlgorithmE0EiEvPT3_S3_i
		.amdhsa_group_segment_fixed_size 0
		.amdhsa_private_segment_fixed_size 0
		.amdhsa_kernarg_size 20
		.amdhsa_user_sgpr_count 6
		.amdhsa_user_sgpr_private_segment_buffer 1
		.amdhsa_user_sgpr_dispatch_ptr 0
		.amdhsa_user_sgpr_queue_ptr 0
		.amdhsa_user_sgpr_kernarg_segment_ptr 1
		.amdhsa_user_sgpr_dispatch_id 0
		.amdhsa_user_sgpr_flat_scratch_init 0
		.amdhsa_user_sgpr_private_segment_size 0
		.amdhsa_uses_dynamic_stack 0
		.amdhsa_system_sgpr_private_segment_wavefront_offset 0
		.amdhsa_system_sgpr_workgroup_id_x 1
		.amdhsa_system_sgpr_workgroup_id_y 0
		.amdhsa_system_sgpr_workgroup_id_z 0
		.amdhsa_system_sgpr_workgroup_info 0
		.amdhsa_system_vgpr_workitem_id 0
		.amdhsa_next_free_vgpr 8
		.amdhsa_next_free_sgpr 7
		.amdhsa_reserve_vcc 1
		.amdhsa_reserve_flat_scratch 0
		.amdhsa_float_round_mode_32 0
		.amdhsa_float_round_mode_16_64 0
		.amdhsa_float_denorm_mode_32 3
		.amdhsa_float_denorm_mode_16_64 3
		.amdhsa_dx10_clamp 1
		.amdhsa_ieee_mode 1
		.amdhsa_fp16_overflow 0
		.amdhsa_exception_fp_ieee_invalid_op 0
		.amdhsa_exception_fp_denorm_src 0
		.amdhsa_exception_fp_ieee_div_zero 0
		.amdhsa_exception_fp_ieee_overflow 0
		.amdhsa_exception_fp_ieee_underflow 0
		.amdhsa_exception_fp_ieee_inexact 0
		.amdhsa_exception_int_div_zero 0
	.end_amdhsa_kernel
	.section	.text._Z25warp_store_guarded_kernelILj1024ELj4ELj16ELN6hipcub18WarpStoreAlgorithmE0EiEvPT3_S3_i,"axG",@progbits,_Z25warp_store_guarded_kernelILj1024ELj4ELj16ELN6hipcub18WarpStoreAlgorithmE0EiEvPT3_S3_i,comdat
.Lfunc_end27:
	.size	_Z25warp_store_guarded_kernelILj1024ELj4ELj16ELN6hipcub18WarpStoreAlgorithmE0EiEvPT3_S3_i, .Lfunc_end27-_Z25warp_store_guarded_kernelILj1024ELj4ELj16ELN6hipcub18WarpStoreAlgorithmE0EiEvPT3_S3_i
                                        ; -- End function
	.set _Z25warp_store_guarded_kernelILj1024ELj4ELj16ELN6hipcub18WarpStoreAlgorithmE0EiEvPT3_S3_i.num_vgpr, 8
	.set _Z25warp_store_guarded_kernelILj1024ELj4ELj16ELN6hipcub18WarpStoreAlgorithmE0EiEvPT3_S3_i.num_agpr, 0
	.set _Z25warp_store_guarded_kernelILj1024ELj4ELj16ELN6hipcub18WarpStoreAlgorithmE0EiEvPT3_S3_i.numbered_sgpr, 7
	.set _Z25warp_store_guarded_kernelILj1024ELj4ELj16ELN6hipcub18WarpStoreAlgorithmE0EiEvPT3_S3_i.num_named_barrier, 0
	.set _Z25warp_store_guarded_kernelILj1024ELj4ELj16ELN6hipcub18WarpStoreAlgorithmE0EiEvPT3_S3_i.private_seg_size, 0
	.set _Z25warp_store_guarded_kernelILj1024ELj4ELj16ELN6hipcub18WarpStoreAlgorithmE0EiEvPT3_S3_i.uses_vcc, 1
	.set _Z25warp_store_guarded_kernelILj1024ELj4ELj16ELN6hipcub18WarpStoreAlgorithmE0EiEvPT3_S3_i.uses_flat_scratch, 0
	.set _Z25warp_store_guarded_kernelILj1024ELj4ELj16ELN6hipcub18WarpStoreAlgorithmE0EiEvPT3_S3_i.has_dyn_sized_stack, 0
	.set _Z25warp_store_guarded_kernelILj1024ELj4ELj16ELN6hipcub18WarpStoreAlgorithmE0EiEvPT3_S3_i.has_recursion, 0
	.set _Z25warp_store_guarded_kernelILj1024ELj4ELj16ELN6hipcub18WarpStoreAlgorithmE0EiEvPT3_S3_i.has_indirect_call, 0
	.section	.AMDGPU.csdata,"",@progbits
; Kernel info:
; codeLenInByte = 228
; TotalNumSgprs: 11
; NumVgprs: 8
; ScratchSize: 0
; MemoryBound: 0
; FloatMode: 240
; IeeeMode: 1
; LDSByteSize: 0 bytes/workgroup (compile time only)
; SGPRBlocks: 1
; VGPRBlocks: 1
; NumSGPRsForWavesPerEU: 11
; NumVGPRsForWavesPerEU: 8
; Occupancy: 10
; WaveLimiterHint : 0
; COMPUTE_PGM_RSRC2:SCRATCH_EN: 0
; COMPUTE_PGM_RSRC2:USER_SGPR: 6
; COMPUTE_PGM_RSRC2:TRAP_HANDLER: 0
; COMPUTE_PGM_RSRC2:TGID_X_EN: 1
; COMPUTE_PGM_RSRC2:TGID_Y_EN: 0
; COMPUTE_PGM_RSRC2:TGID_Z_EN: 0
; COMPUTE_PGM_RSRC2:TIDIG_COMP_CNT: 0
	.section	.text._Z25warp_store_guarded_kernelILj1024ELj4ELj1ELN6hipcub18WarpStoreAlgorithmE3EiEvPT3_S3_i,"axG",@progbits,_Z25warp_store_guarded_kernelILj1024ELj4ELj1ELN6hipcub18WarpStoreAlgorithmE3EiEvPT3_S3_i,comdat
	.protected	_Z25warp_store_guarded_kernelILj1024ELj4ELj1ELN6hipcub18WarpStoreAlgorithmE3EiEvPT3_S3_i ; -- Begin function _Z25warp_store_guarded_kernelILj1024ELj4ELj1ELN6hipcub18WarpStoreAlgorithmE3EiEvPT3_S3_i
	.globl	_Z25warp_store_guarded_kernelILj1024ELj4ELj1ELN6hipcub18WarpStoreAlgorithmE3EiEvPT3_S3_i
	.p2align	8
	.type	_Z25warp_store_guarded_kernelILj1024ELj4ELj1ELN6hipcub18WarpStoreAlgorithmE3EiEvPT3_S3_i,@function
_Z25warp_store_guarded_kernelILj1024ELj4ELj1ELN6hipcub18WarpStoreAlgorithmE3EiEvPT3_S3_i: ; @_Z25warp_store_guarded_kernelILj1024ELj4ELj1ELN6hipcub18WarpStoreAlgorithmE3EiEvPT3_S3_i
; %bb.0:
	s_load_dwordx4 s[8:11], s[4:5], 0x0
	s_load_dword s0, s[4:5], 0x10
	v_lshlrev_b32_e32 v4, 4, v0
	s_waitcnt lgkmcnt(0)
	global_load_dwordx4 v[5:8], v4, s[8:9]
	v_mov_b32_e32 v1, s11
	v_add_co_u32_e32 v0, vcc, s10, v4
	s_cmp_eq_u32 s0, 0
	v_addc_co_u32_e32 v1, vcc, 0, v1, vcc
	s_waitcnt vmcnt(0)
	ds_write_b128 v4, v[5:8]
	; wave barrier
	s_cbranch_scc1 .LBB28_2
; %bb.1:
	ds_read_b32 v2, v4
	s_waitcnt lgkmcnt(0)
	global_store_dword v[0:1], v2, off
.LBB28_2:
	ds_read2_b32 v[2:3], v4 offset0:1 offset1:2
	s_cmp_lt_u32 s0, 2
	s_cbranch_scc0 .LBB28_6
; %bb.3:
	s_cmp_lt_u32 s0, 3
	s_cbranch_scc0 .LBB28_7
.LBB28_4:
	s_cmp_lt_u32 s0, 4
	s_cbranch_scc0 .LBB28_8
.LBB28_5:
	s_endpgm
.LBB28_6:
	s_waitcnt lgkmcnt(0)
	global_store_dword v[0:1], v2, off offset:4
	s_cmp_lt_u32 s0, 3
	s_cbranch_scc1 .LBB28_4
.LBB28_7:
	s_waitcnt lgkmcnt(0)
	global_store_dword v[0:1], v3, off offset:8
	s_cmp_lt_u32 s0, 4
	s_cbranch_scc1 .LBB28_5
.LBB28_8:
	s_waitcnt lgkmcnt(0)
	ds_read_b32 v2, v4 offset:12
	s_waitcnt lgkmcnt(0)
	global_store_dword v[0:1], v2, off offset:12
	s_endpgm
	.section	.rodata,"a",@progbits
	.p2align	6, 0x0
	.amdhsa_kernel _Z25warp_store_guarded_kernelILj1024ELj4ELj1ELN6hipcub18WarpStoreAlgorithmE3EiEvPT3_S3_i
		.amdhsa_group_segment_fixed_size 16384
		.amdhsa_private_segment_fixed_size 0
		.amdhsa_kernarg_size 20
		.amdhsa_user_sgpr_count 6
		.amdhsa_user_sgpr_private_segment_buffer 1
		.amdhsa_user_sgpr_dispatch_ptr 0
		.amdhsa_user_sgpr_queue_ptr 0
		.amdhsa_user_sgpr_kernarg_segment_ptr 1
		.amdhsa_user_sgpr_dispatch_id 0
		.amdhsa_user_sgpr_flat_scratch_init 0
		.amdhsa_user_sgpr_private_segment_size 0
		.amdhsa_uses_dynamic_stack 0
		.amdhsa_system_sgpr_private_segment_wavefront_offset 0
		.amdhsa_system_sgpr_workgroup_id_x 1
		.amdhsa_system_sgpr_workgroup_id_y 0
		.amdhsa_system_sgpr_workgroup_id_z 0
		.amdhsa_system_sgpr_workgroup_info 0
		.amdhsa_system_vgpr_workitem_id 0
		.amdhsa_next_free_vgpr 29
		.amdhsa_next_free_sgpr 61
		.amdhsa_reserve_vcc 1
		.amdhsa_reserve_flat_scratch 0
		.amdhsa_float_round_mode_32 0
		.amdhsa_float_round_mode_16_64 0
		.amdhsa_float_denorm_mode_32 3
		.amdhsa_float_denorm_mode_16_64 3
		.amdhsa_dx10_clamp 1
		.amdhsa_ieee_mode 1
		.amdhsa_fp16_overflow 0
		.amdhsa_exception_fp_ieee_invalid_op 0
		.amdhsa_exception_fp_denorm_src 0
		.amdhsa_exception_fp_ieee_div_zero 0
		.amdhsa_exception_fp_ieee_overflow 0
		.amdhsa_exception_fp_ieee_underflow 0
		.amdhsa_exception_fp_ieee_inexact 0
		.amdhsa_exception_int_div_zero 0
	.end_amdhsa_kernel
	.section	.text._Z25warp_store_guarded_kernelILj1024ELj4ELj1ELN6hipcub18WarpStoreAlgorithmE3EiEvPT3_S3_i,"axG",@progbits,_Z25warp_store_guarded_kernelILj1024ELj4ELj1ELN6hipcub18WarpStoreAlgorithmE3EiEvPT3_S3_i,comdat
.Lfunc_end28:
	.size	_Z25warp_store_guarded_kernelILj1024ELj4ELj1ELN6hipcub18WarpStoreAlgorithmE3EiEvPT3_S3_i, .Lfunc_end28-_Z25warp_store_guarded_kernelILj1024ELj4ELj1ELN6hipcub18WarpStoreAlgorithmE3EiEvPT3_S3_i
                                        ; -- End function
	.set _Z25warp_store_guarded_kernelILj1024ELj4ELj1ELN6hipcub18WarpStoreAlgorithmE3EiEvPT3_S3_i.num_vgpr, 9
	.set _Z25warp_store_guarded_kernelILj1024ELj4ELj1ELN6hipcub18WarpStoreAlgorithmE3EiEvPT3_S3_i.num_agpr, 0
	.set _Z25warp_store_guarded_kernelILj1024ELj4ELj1ELN6hipcub18WarpStoreAlgorithmE3EiEvPT3_S3_i.numbered_sgpr, 12
	.set _Z25warp_store_guarded_kernelILj1024ELj4ELj1ELN6hipcub18WarpStoreAlgorithmE3EiEvPT3_S3_i.num_named_barrier, 0
	.set _Z25warp_store_guarded_kernelILj1024ELj4ELj1ELN6hipcub18WarpStoreAlgorithmE3EiEvPT3_S3_i.private_seg_size, 0
	.set _Z25warp_store_guarded_kernelILj1024ELj4ELj1ELN6hipcub18WarpStoreAlgorithmE3EiEvPT3_S3_i.uses_vcc, 1
	.set _Z25warp_store_guarded_kernelILj1024ELj4ELj1ELN6hipcub18WarpStoreAlgorithmE3EiEvPT3_S3_i.uses_flat_scratch, 0
	.set _Z25warp_store_guarded_kernelILj1024ELj4ELj1ELN6hipcub18WarpStoreAlgorithmE3EiEvPT3_S3_i.has_dyn_sized_stack, 0
	.set _Z25warp_store_guarded_kernelILj1024ELj4ELj1ELN6hipcub18WarpStoreAlgorithmE3EiEvPT3_S3_i.has_recursion, 0
	.set _Z25warp_store_guarded_kernelILj1024ELj4ELj1ELN6hipcub18WarpStoreAlgorithmE3EiEvPT3_S3_i.has_indirect_call, 0
	.section	.AMDGPU.csdata,"",@progbits
; Kernel info:
; codeLenInByte = 188
; TotalNumSgprs: 16
; NumVgprs: 9
; ScratchSize: 0
; MemoryBound: 0
; FloatMode: 240
; IeeeMode: 1
; LDSByteSize: 16384 bytes/workgroup (compile time only)
; SGPRBlocks: 8
; VGPRBlocks: 7
; NumSGPRsForWavesPerEU: 65
; NumVGPRsForWavesPerEU: 29
; Occupancy: 8
; WaveLimiterHint : 0
; COMPUTE_PGM_RSRC2:SCRATCH_EN: 0
; COMPUTE_PGM_RSRC2:USER_SGPR: 6
; COMPUTE_PGM_RSRC2:TRAP_HANDLER: 0
; COMPUTE_PGM_RSRC2:TGID_X_EN: 1
; COMPUTE_PGM_RSRC2:TGID_Y_EN: 0
; COMPUTE_PGM_RSRC2:TGID_Z_EN: 0
; COMPUTE_PGM_RSRC2:TIDIG_COMP_CNT: 0
	.section	.text._Z25warp_store_guarded_kernelILj1024ELj4ELj1ELN6hipcub18WarpStoreAlgorithmE2EiEvPT3_S3_i,"axG",@progbits,_Z25warp_store_guarded_kernelILj1024ELj4ELj1ELN6hipcub18WarpStoreAlgorithmE2EiEvPT3_S3_i,comdat
	.protected	_Z25warp_store_guarded_kernelILj1024ELj4ELj1ELN6hipcub18WarpStoreAlgorithmE2EiEvPT3_S3_i ; -- Begin function _Z25warp_store_guarded_kernelILj1024ELj4ELj1ELN6hipcub18WarpStoreAlgorithmE2EiEvPT3_S3_i
	.globl	_Z25warp_store_guarded_kernelILj1024ELj4ELj1ELN6hipcub18WarpStoreAlgorithmE2EiEvPT3_S3_i
	.p2align	8
	.type	_Z25warp_store_guarded_kernelILj1024ELj4ELj1ELN6hipcub18WarpStoreAlgorithmE2EiEvPT3_S3_i,@function
_Z25warp_store_guarded_kernelILj1024ELj4ELj1ELN6hipcub18WarpStoreAlgorithmE2EiEvPT3_S3_i: ; @_Z25warp_store_guarded_kernelILj1024ELj4ELj1ELN6hipcub18WarpStoreAlgorithmE2EiEvPT3_S3_i
; %bb.0:
	s_load_dwordx4 s[0:3], s[4:5], 0x0
	s_load_dword s6, s[4:5], 0x10
	v_lshlrev_b32_e32 v5, 4, v0
	s_waitcnt lgkmcnt(0)
	global_load_dwordx3 v[0:2], v5, s[0:1] offset:4
	v_mov_b32_e32 v4, s3
	v_add_co_u32_e32 v3, vcc, s2, v5
	s_cmp_eq_u32 s6, 0
	v_addc_co_u32_e32 v4, vcc, 0, v4, vcc
	s_cbranch_scc1 .LBB29_2
; %bb.1:
	v_mov_b32_e32 v6, s1
	v_add_co_u32_e32 v5, vcc, s0, v5
	v_addc_co_u32_e32 v6, vcc, 0, v6, vcc
	global_load_dword v5, v[5:6], off
	s_waitcnt vmcnt(0)
	global_store_dword v[3:4], v5, off
.LBB29_2:
	s_cmp_lt_u32 s6, 2
	s_cbranch_scc0 .LBB29_6
; %bb.3:
	s_cmp_lt_u32 s6, 3
	s_cbranch_scc0 .LBB29_7
.LBB29_4:
	s_cmp_lt_u32 s6, 4
	s_cbranch_scc0 .LBB29_8
.LBB29_5:
	s_endpgm
.LBB29_6:
	s_waitcnt vmcnt(0)
	global_store_dword v[3:4], v0, off offset:4
	s_cmp_lt_u32 s6, 3
	s_cbranch_scc1 .LBB29_4
.LBB29_7:
	s_waitcnt vmcnt(0)
	global_store_dword v[3:4], v1, off offset:8
	s_cmp_lt_u32 s6, 4
	s_cbranch_scc1 .LBB29_5
.LBB29_8:
	s_waitcnt vmcnt(0)
	global_store_dword v[3:4], v2, off offset:12
	s_endpgm
	.section	.rodata,"a",@progbits
	.p2align	6, 0x0
	.amdhsa_kernel _Z25warp_store_guarded_kernelILj1024ELj4ELj1ELN6hipcub18WarpStoreAlgorithmE2EiEvPT3_S3_i
		.amdhsa_group_segment_fixed_size 0
		.amdhsa_private_segment_fixed_size 0
		.amdhsa_kernarg_size 20
		.amdhsa_user_sgpr_count 6
		.amdhsa_user_sgpr_private_segment_buffer 1
		.amdhsa_user_sgpr_dispatch_ptr 0
		.amdhsa_user_sgpr_queue_ptr 0
		.amdhsa_user_sgpr_kernarg_segment_ptr 1
		.amdhsa_user_sgpr_dispatch_id 0
		.amdhsa_user_sgpr_flat_scratch_init 0
		.amdhsa_user_sgpr_private_segment_size 0
		.amdhsa_uses_dynamic_stack 0
		.amdhsa_system_sgpr_private_segment_wavefront_offset 0
		.amdhsa_system_sgpr_workgroup_id_x 1
		.amdhsa_system_sgpr_workgroup_id_y 0
		.amdhsa_system_sgpr_workgroup_id_z 0
		.amdhsa_system_sgpr_workgroup_info 0
		.amdhsa_system_vgpr_workitem_id 0
		.amdhsa_next_free_vgpr 7
		.amdhsa_next_free_sgpr 7
		.amdhsa_reserve_vcc 1
		.amdhsa_reserve_flat_scratch 0
		.amdhsa_float_round_mode_32 0
		.amdhsa_float_round_mode_16_64 0
		.amdhsa_float_denorm_mode_32 3
		.amdhsa_float_denorm_mode_16_64 3
		.amdhsa_dx10_clamp 1
		.amdhsa_ieee_mode 1
		.amdhsa_fp16_overflow 0
		.amdhsa_exception_fp_ieee_invalid_op 0
		.amdhsa_exception_fp_denorm_src 0
		.amdhsa_exception_fp_ieee_div_zero 0
		.amdhsa_exception_fp_ieee_overflow 0
		.amdhsa_exception_fp_ieee_underflow 0
		.amdhsa_exception_fp_ieee_inexact 0
		.amdhsa_exception_int_div_zero 0
	.end_amdhsa_kernel
	.section	.text._Z25warp_store_guarded_kernelILj1024ELj4ELj1ELN6hipcub18WarpStoreAlgorithmE2EiEvPT3_S3_i,"axG",@progbits,_Z25warp_store_guarded_kernelILj1024ELj4ELj1ELN6hipcub18WarpStoreAlgorithmE2EiEvPT3_S3_i,comdat
.Lfunc_end29:
	.size	_Z25warp_store_guarded_kernelILj1024ELj4ELj1ELN6hipcub18WarpStoreAlgorithmE2EiEvPT3_S3_i, .Lfunc_end29-_Z25warp_store_guarded_kernelILj1024ELj4ELj1ELN6hipcub18WarpStoreAlgorithmE2EiEvPT3_S3_i
                                        ; -- End function
	.set _Z25warp_store_guarded_kernelILj1024ELj4ELj1ELN6hipcub18WarpStoreAlgorithmE2EiEvPT3_S3_i.num_vgpr, 7
	.set _Z25warp_store_guarded_kernelILj1024ELj4ELj1ELN6hipcub18WarpStoreAlgorithmE2EiEvPT3_S3_i.num_agpr, 0
	.set _Z25warp_store_guarded_kernelILj1024ELj4ELj1ELN6hipcub18WarpStoreAlgorithmE2EiEvPT3_S3_i.numbered_sgpr, 7
	.set _Z25warp_store_guarded_kernelILj1024ELj4ELj1ELN6hipcub18WarpStoreAlgorithmE2EiEvPT3_S3_i.num_named_barrier, 0
	.set _Z25warp_store_guarded_kernelILj1024ELj4ELj1ELN6hipcub18WarpStoreAlgorithmE2EiEvPT3_S3_i.private_seg_size, 0
	.set _Z25warp_store_guarded_kernelILj1024ELj4ELj1ELN6hipcub18WarpStoreAlgorithmE2EiEvPT3_S3_i.uses_vcc, 1
	.set _Z25warp_store_guarded_kernelILj1024ELj4ELj1ELN6hipcub18WarpStoreAlgorithmE2EiEvPT3_S3_i.uses_flat_scratch, 0
	.set _Z25warp_store_guarded_kernelILj1024ELj4ELj1ELN6hipcub18WarpStoreAlgorithmE2EiEvPT3_S3_i.has_dyn_sized_stack, 0
	.set _Z25warp_store_guarded_kernelILj1024ELj4ELj1ELN6hipcub18WarpStoreAlgorithmE2EiEvPT3_S3_i.has_recursion, 0
	.set _Z25warp_store_guarded_kernelILj1024ELj4ELj1ELN6hipcub18WarpStoreAlgorithmE2EiEvPT3_S3_i.has_indirect_call, 0
	.section	.AMDGPU.csdata,"",@progbits
; Kernel info:
; codeLenInByte = 168
; TotalNumSgprs: 11
; NumVgprs: 7
; ScratchSize: 0
; MemoryBound: 0
; FloatMode: 240
; IeeeMode: 1
; LDSByteSize: 0 bytes/workgroup (compile time only)
; SGPRBlocks: 1
; VGPRBlocks: 1
; NumSGPRsForWavesPerEU: 11
; NumVGPRsForWavesPerEU: 7
; Occupancy: 10
; WaveLimiterHint : 0
; COMPUTE_PGM_RSRC2:SCRATCH_EN: 0
; COMPUTE_PGM_RSRC2:USER_SGPR: 6
; COMPUTE_PGM_RSRC2:TRAP_HANDLER: 0
; COMPUTE_PGM_RSRC2:TGID_X_EN: 1
; COMPUTE_PGM_RSRC2:TGID_Y_EN: 0
; COMPUTE_PGM_RSRC2:TGID_Z_EN: 0
; COMPUTE_PGM_RSRC2:TIDIG_COMP_CNT: 0
	.section	.text._Z25warp_store_guarded_kernelILj1024ELj4ELj1ELN6hipcub18WarpStoreAlgorithmE1EiEvPT3_S3_i,"axG",@progbits,_Z25warp_store_guarded_kernelILj1024ELj4ELj1ELN6hipcub18WarpStoreAlgorithmE1EiEvPT3_S3_i,comdat
	.protected	_Z25warp_store_guarded_kernelILj1024ELj4ELj1ELN6hipcub18WarpStoreAlgorithmE1EiEvPT3_S3_i ; -- Begin function _Z25warp_store_guarded_kernelILj1024ELj4ELj1ELN6hipcub18WarpStoreAlgorithmE1EiEvPT3_S3_i
	.globl	_Z25warp_store_guarded_kernelILj1024ELj4ELj1ELN6hipcub18WarpStoreAlgorithmE1EiEvPT3_S3_i
	.p2align	8
	.type	_Z25warp_store_guarded_kernelILj1024ELj4ELj1ELN6hipcub18WarpStoreAlgorithmE1EiEvPT3_S3_i,@function
_Z25warp_store_guarded_kernelILj1024ELj4ELj1ELN6hipcub18WarpStoreAlgorithmE1EiEvPT3_S3_i: ; @_Z25warp_store_guarded_kernelILj1024ELj4ELj1ELN6hipcub18WarpStoreAlgorithmE1EiEvPT3_S3_i
; %bb.0:
	s_load_dwordx4 s[0:3], s[4:5], 0x0
	s_load_dword s6, s[4:5], 0x10
	v_lshlrev_b32_e32 v5, 4, v0
	s_waitcnt lgkmcnt(0)
	global_load_dwordx3 v[0:2], v5, s[0:1] offset:4
	v_mov_b32_e32 v4, s3
	v_add_co_u32_e32 v3, vcc, s2, v5
	s_cmp_eq_u32 s6, 0
	v_addc_co_u32_e32 v4, vcc, 0, v4, vcc
	s_cbranch_scc1 .LBB30_2
; %bb.1:
	v_mov_b32_e32 v6, s1
	v_add_co_u32_e32 v5, vcc, s0, v5
	v_addc_co_u32_e32 v6, vcc, 0, v6, vcc
	global_load_dword v5, v[5:6], off
	s_waitcnt vmcnt(0)
	global_store_dword v[3:4], v5, off
.LBB30_2:
	s_cmp_lt_u32 s6, 2
	s_cbranch_scc0 .LBB30_6
; %bb.3:
	s_cmp_lt_u32 s6, 3
	s_cbranch_scc0 .LBB30_7
.LBB30_4:
	s_cmp_lt_u32 s6, 4
	s_cbranch_scc0 .LBB30_8
.LBB30_5:
	s_endpgm
.LBB30_6:
	s_waitcnt vmcnt(0)
	global_store_dword v[3:4], v0, off offset:4
	s_cmp_lt_u32 s6, 3
	s_cbranch_scc1 .LBB30_4
.LBB30_7:
	s_waitcnt vmcnt(0)
	global_store_dword v[3:4], v1, off offset:8
	s_cmp_lt_u32 s6, 4
	s_cbranch_scc1 .LBB30_5
.LBB30_8:
	s_waitcnt vmcnt(0)
	global_store_dword v[3:4], v2, off offset:12
	s_endpgm
	.section	.rodata,"a",@progbits
	.p2align	6, 0x0
	.amdhsa_kernel _Z25warp_store_guarded_kernelILj1024ELj4ELj1ELN6hipcub18WarpStoreAlgorithmE1EiEvPT3_S3_i
		.amdhsa_group_segment_fixed_size 0
		.amdhsa_private_segment_fixed_size 0
		.amdhsa_kernarg_size 20
		.amdhsa_user_sgpr_count 6
		.amdhsa_user_sgpr_private_segment_buffer 1
		.amdhsa_user_sgpr_dispatch_ptr 0
		.amdhsa_user_sgpr_queue_ptr 0
		.amdhsa_user_sgpr_kernarg_segment_ptr 1
		.amdhsa_user_sgpr_dispatch_id 0
		.amdhsa_user_sgpr_flat_scratch_init 0
		.amdhsa_user_sgpr_private_segment_size 0
		.amdhsa_uses_dynamic_stack 0
		.amdhsa_system_sgpr_private_segment_wavefront_offset 0
		.amdhsa_system_sgpr_workgroup_id_x 1
		.amdhsa_system_sgpr_workgroup_id_y 0
		.amdhsa_system_sgpr_workgroup_id_z 0
		.amdhsa_system_sgpr_workgroup_info 0
		.amdhsa_system_vgpr_workitem_id 0
		.amdhsa_next_free_vgpr 7
		.amdhsa_next_free_sgpr 7
		.amdhsa_reserve_vcc 1
		.amdhsa_reserve_flat_scratch 0
		.amdhsa_float_round_mode_32 0
		.amdhsa_float_round_mode_16_64 0
		.amdhsa_float_denorm_mode_32 3
		.amdhsa_float_denorm_mode_16_64 3
		.amdhsa_dx10_clamp 1
		.amdhsa_ieee_mode 1
		.amdhsa_fp16_overflow 0
		.amdhsa_exception_fp_ieee_invalid_op 0
		.amdhsa_exception_fp_denorm_src 0
		.amdhsa_exception_fp_ieee_div_zero 0
		.amdhsa_exception_fp_ieee_overflow 0
		.amdhsa_exception_fp_ieee_underflow 0
		.amdhsa_exception_fp_ieee_inexact 0
		.amdhsa_exception_int_div_zero 0
	.end_amdhsa_kernel
	.section	.text._Z25warp_store_guarded_kernelILj1024ELj4ELj1ELN6hipcub18WarpStoreAlgorithmE1EiEvPT3_S3_i,"axG",@progbits,_Z25warp_store_guarded_kernelILj1024ELj4ELj1ELN6hipcub18WarpStoreAlgorithmE1EiEvPT3_S3_i,comdat
.Lfunc_end30:
	.size	_Z25warp_store_guarded_kernelILj1024ELj4ELj1ELN6hipcub18WarpStoreAlgorithmE1EiEvPT3_S3_i, .Lfunc_end30-_Z25warp_store_guarded_kernelILj1024ELj4ELj1ELN6hipcub18WarpStoreAlgorithmE1EiEvPT3_S3_i
                                        ; -- End function
	.set _Z25warp_store_guarded_kernelILj1024ELj4ELj1ELN6hipcub18WarpStoreAlgorithmE1EiEvPT3_S3_i.num_vgpr, 7
	.set _Z25warp_store_guarded_kernelILj1024ELj4ELj1ELN6hipcub18WarpStoreAlgorithmE1EiEvPT3_S3_i.num_agpr, 0
	.set _Z25warp_store_guarded_kernelILj1024ELj4ELj1ELN6hipcub18WarpStoreAlgorithmE1EiEvPT3_S3_i.numbered_sgpr, 7
	.set _Z25warp_store_guarded_kernelILj1024ELj4ELj1ELN6hipcub18WarpStoreAlgorithmE1EiEvPT3_S3_i.num_named_barrier, 0
	.set _Z25warp_store_guarded_kernelILj1024ELj4ELj1ELN6hipcub18WarpStoreAlgorithmE1EiEvPT3_S3_i.private_seg_size, 0
	.set _Z25warp_store_guarded_kernelILj1024ELj4ELj1ELN6hipcub18WarpStoreAlgorithmE1EiEvPT3_S3_i.uses_vcc, 1
	.set _Z25warp_store_guarded_kernelILj1024ELj4ELj1ELN6hipcub18WarpStoreAlgorithmE1EiEvPT3_S3_i.uses_flat_scratch, 0
	.set _Z25warp_store_guarded_kernelILj1024ELj4ELj1ELN6hipcub18WarpStoreAlgorithmE1EiEvPT3_S3_i.has_dyn_sized_stack, 0
	.set _Z25warp_store_guarded_kernelILj1024ELj4ELj1ELN6hipcub18WarpStoreAlgorithmE1EiEvPT3_S3_i.has_recursion, 0
	.set _Z25warp_store_guarded_kernelILj1024ELj4ELj1ELN6hipcub18WarpStoreAlgorithmE1EiEvPT3_S3_i.has_indirect_call, 0
	.section	.AMDGPU.csdata,"",@progbits
; Kernel info:
; codeLenInByte = 168
; TotalNumSgprs: 11
; NumVgprs: 7
; ScratchSize: 0
; MemoryBound: 0
; FloatMode: 240
; IeeeMode: 1
; LDSByteSize: 0 bytes/workgroup (compile time only)
; SGPRBlocks: 1
; VGPRBlocks: 1
; NumSGPRsForWavesPerEU: 11
; NumVGPRsForWavesPerEU: 7
; Occupancy: 10
; WaveLimiterHint : 0
; COMPUTE_PGM_RSRC2:SCRATCH_EN: 0
; COMPUTE_PGM_RSRC2:USER_SGPR: 6
; COMPUTE_PGM_RSRC2:TRAP_HANDLER: 0
; COMPUTE_PGM_RSRC2:TGID_X_EN: 1
; COMPUTE_PGM_RSRC2:TGID_Y_EN: 0
; COMPUTE_PGM_RSRC2:TGID_Z_EN: 0
; COMPUTE_PGM_RSRC2:TIDIG_COMP_CNT: 0
	.section	.text._Z25warp_store_guarded_kernelILj1024ELj4ELj1ELN6hipcub18WarpStoreAlgorithmE0EiEvPT3_S3_i,"axG",@progbits,_Z25warp_store_guarded_kernelILj1024ELj4ELj1ELN6hipcub18WarpStoreAlgorithmE0EiEvPT3_S3_i,comdat
	.protected	_Z25warp_store_guarded_kernelILj1024ELj4ELj1ELN6hipcub18WarpStoreAlgorithmE0EiEvPT3_S3_i ; -- Begin function _Z25warp_store_guarded_kernelILj1024ELj4ELj1ELN6hipcub18WarpStoreAlgorithmE0EiEvPT3_S3_i
	.globl	_Z25warp_store_guarded_kernelILj1024ELj4ELj1ELN6hipcub18WarpStoreAlgorithmE0EiEvPT3_S3_i
	.p2align	8
	.type	_Z25warp_store_guarded_kernelILj1024ELj4ELj1ELN6hipcub18WarpStoreAlgorithmE0EiEvPT3_S3_i,@function
_Z25warp_store_guarded_kernelILj1024ELj4ELj1ELN6hipcub18WarpStoreAlgorithmE0EiEvPT3_S3_i: ; @_Z25warp_store_guarded_kernelILj1024ELj4ELj1ELN6hipcub18WarpStoreAlgorithmE0EiEvPT3_S3_i
; %bb.0:
	s_load_dwordx4 s[0:3], s[4:5], 0x0
	s_load_dword s6, s[4:5], 0x10
	v_lshlrev_b32_e32 v5, 4, v0
	s_waitcnt lgkmcnt(0)
	global_load_dwordx3 v[0:2], v5, s[0:1] offset:4
	v_mov_b32_e32 v4, s3
	v_add_co_u32_e32 v3, vcc, s2, v5
	s_cmp_eq_u32 s6, 0
	v_addc_co_u32_e32 v4, vcc, 0, v4, vcc
	s_cbranch_scc1 .LBB31_2
; %bb.1:
	v_mov_b32_e32 v6, s1
	v_add_co_u32_e32 v5, vcc, s0, v5
	v_addc_co_u32_e32 v6, vcc, 0, v6, vcc
	global_load_dword v5, v[5:6], off
	s_waitcnt vmcnt(0)
	global_store_dword v[3:4], v5, off
.LBB31_2:
	s_cmp_lt_u32 s6, 2
	s_cbranch_scc0 .LBB31_6
; %bb.3:
	s_cmp_lt_u32 s6, 3
	s_cbranch_scc0 .LBB31_7
.LBB31_4:
	s_cmp_lt_u32 s6, 4
	s_cbranch_scc0 .LBB31_8
.LBB31_5:
	s_endpgm
.LBB31_6:
	s_waitcnt vmcnt(0)
	global_store_dword v[3:4], v0, off offset:4
	s_cmp_lt_u32 s6, 3
	s_cbranch_scc1 .LBB31_4
.LBB31_7:
	s_waitcnt vmcnt(0)
	global_store_dword v[3:4], v1, off offset:8
	s_cmp_lt_u32 s6, 4
	s_cbranch_scc1 .LBB31_5
.LBB31_8:
	s_waitcnt vmcnt(0)
	global_store_dword v[3:4], v2, off offset:12
	s_endpgm
	.section	.rodata,"a",@progbits
	.p2align	6, 0x0
	.amdhsa_kernel _Z25warp_store_guarded_kernelILj1024ELj4ELj1ELN6hipcub18WarpStoreAlgorithmE0EiEvPT3_S3_i
		.amdhsa_group_segment_fixed_size 0
		.amdhsa_private_segment_fixed_size 0
		.amdhsa_kernarg_size 20
		.amdhsa_user_sgpr_count 6
		.amdhsa_user_sgpr_private_segment_buffer 1
		.amdhsa_user_sgpr_dispatch_ptr 0
		.amdhsa_user_sgpr_queue_ptr 0
		.amdhsa_user_sgpr_kernarg_segment_ptr 1
		.amdhsa_user_sgpr_dispatch_id 0
		.amdhsa_user_sgpr_flat_scratch_init 0
		.amdhsa_user_sgpr_private_segment_size 0
		.amdhsa_uses_dynamic_stack 0
		.amdhsa_system_sgpr_private_segment_wavefront_offset 0
		.amdhsa_system_sgpr_workgroup_id_x 1
		.amdhsa_system_sgpr_workgroup_id_y 0
		.amdhsa_system_sgpr_workgroup_id_z 0
		.amdhsa_system_sgpr_workgroup_info 0
		.amdhsa_system_vgpr_workitem_id 0
		.amdhsa_next_free_vgpr 7
		.amdhsa_next_free_sgpr 7
		.amdhsa_reserve_vcc 1
		.amdhsa_reserve_flat_scratch 0
		.amdhsa_float_round_mode_32 0
		.amdhsa_float_round_mode_16_64 0
		.amdhsa_float_denorm_mode_32 3
		.amdhsa_float_denorm_mode_16_64 3
		.amdhsa_dx10_clamp 1
		.amdhsa_ieee_mode 1
		.amdhsa_fp16_overflow 0
		.amdhsa_exception_fp_ieee_invalid_op 0
		.amdhsa_exception_fp_denorm_src 0
		.amdhsa_exception_fp_ieee_div_zero 0
		.amdhsa_exception_fp_ieee_overflow 0
		.amdhsa_exception_fp_ieee_underflow 0
		.amdhsa_exception_fp_ieee_inexact 0
		.amdhsa_exception_int_div_zero 0
	.end_amdhsa_kernel
	.section	.text._Z25warp_store_guarded_kernelILj1024ELj4ELj1ELN6hipcub18WarpStoreAlgorithmE0EiEvPT3_S3_i,"axG",@progbits,_Z25warp_store_guarded_kernelILj1024ELj4ELj1ELN6hipcub18WarpStoreAlgorithmE0EiEvPT3_S3_i,comdat
.Lfunc_end31:
	.size	_Z25warp_store_guarded_kernelILj1024ELj4ELj1ELN6hipcub18WarpStoreAlgorithmE0EiEvPT3_S3_i, .Lfunc_end31-_Z25warp_store_guarded_kernelILj1024ELj4ELj1ELN6hipcub18WarpStoreAlgorithmE0EiEvPT3_S3_i
                                        ; -- End function
	.set _Z25warp_store_guarded_kernelILj1024ELj4ELj1ELN6hipcub18WarpStoreAlgorithmE0EiEvPT3_S3_i.num_vgpr, 7
	.set _Z25warp_store_guarded_kernelILj1024ELj4ELj1ELN6hipcub18WarpStoreAlgorithmE0EiEvPT3_S3_i.num_agpr, 0
	.set _Z25warp_store_guarded_kernelILj1024ELj4ELj1ELN6hipcub18WarpStoreAlgorithmE0EiEvPT3_S3_i.numbered_sgpr, 7
	.set _Z25warp_store_guarded_kernelILj1024ELj4ELj1ELN6hipcub18WarpStoreAlgorithmE0EiEvPT3_S3_i.num_named_barrier, 0
	.set _Z25warp_store_guarded_kernelILj1024ELj4ELj1ELN6hipcub18WarpStoreAlgorithmE0EiEvPT3_S3_i.private_seg_size, 0
	.set _Z25warp_store_guarded_kernelILj1024ELj4ELj1ELN6hipcub18WarpStoreAlgorithmE0EiEvPT3_S3_i.uses_vcc, 1
	.set _Z25warp_store_guarded_kernelILj1024ELj4ELj1ELN6hipcub18WarpStoreAlgorithmE0EiEvPT3_S3_i.uses_flat_scratch, 0
	.set _Z25warp_store_guarded_kernelILj1024ELj4ELj1ELN6hipcub18WarpStoreAlgorithmE0EiEvPT3_S3_i.has_dyn_sized_stack, 0
	.set _Z25warp_store_guarded_kernelILj1024ELj4ELj1ELN6hipcub18WarpStoreAlgorithmE0EiEvPT3_S3_i.has_recursion, 0
	.set _Z25warp_store_guarded_kernelILj1024ELj4ELj1ELN6hipcub18WarpStoreAlgorithmE0EiEvPT3_S3_i.has_indirect_call, 0
	.section	.AMDGPU.csdata,"",@progbits
; Kernel info:
; codeLenInByte = 168
; TotalNumSgprs: 11
; NumVgprs: 7
; ScratchSize: 0
; MemoryBound: 0
; FloatMode: 240
; IeeeMode: 1
; LDSByteSize: 0 bytes/workgroup (compile time only)
; SGPRBlocks: 1
; VGPRBlocks: 1
; NumSGPRsForWavesPerEU: 11
; NumVGPRsForWavesPerEU: 7
; Occupancy: 10
; WaveLimiterHint : 0
; COMPUTE_PGM_RSRC2:SCRATCH_EN: 0
; COMPUTE_PGM_RSRC2:USER_SGPR: 6
; COMPUTE_PGM_RSRC2:TRAP_HANDLER: 0
; COMPUTE_PGM_RSRC2:TGID_X_EN: 1
; COMPUTE_PGM_RSRC2:TGID_Y_EN: 0
; COMPUTE_PGM_RSRC2:TGID_Z_EN: 0
; COMPUTE_PGM_RSRC2:TIDIG_COMP_CNT: 0
	.section	.AMDGPU.gpr_maximums,"",@progbits
	.set amdgpu.max_num_vgpr, 0
	.set amdgpu.max_num_agpr, 0
	.set amdgpu.max_num_sgpr, 0
	.section	.AMDGPU.csdata,"",@progbits
	.type	__hip_cuid_9eb1179a91230b2a,@object ; @__hip_cuid_9eb1179a91230b2a
	.section	.bss,"aw",@nobits
	.globl	__hip_cuid_9eb1179a91230b2a
__hip_cuid_9eb1179a91230b2a:
	.byte	0                               ; 0x0
	.size	__hip_cuid_9eb1179a91230b2a, 1

	.ident	"AMD clang version 22.0.0git (https://github.com/RadeonOpenCompute/llvm-project roc-7.2.4 26084 f58b06dce1f9c15707c5f808fd002e18c2accf7e)"
	.section	".note.GNU-stack","",@progbits
	.addrsig
	.addrsig_sym __hip_cuid_9eb1179a91230b2a
	.amdgpu_metadata
---
amdhsa.kernels:
  - .args:
      - .address_space:  global
        .offset:         0
        .size:           8
        .value_kind:     global_buffer
      - .address_space:  global
        .offset:         8
        .size:           8
        .value_kind:     global_buffer
    .group_segment_fixed_size: 16384
    .kernarg_segment_align: 8
    .kernarg_segment_size: 16
    .language:       OpenCL C
    .language_version:
      - 2
      - 0
    .max_flat_workgroup_size: 1024
    .name:           _Z17warp_store_kernelILj1024ELj4ELj64ELN6hipcub18WarpStoreAlgorithmE3EiEvPT3_S3_
    .private_segment_fixed_size: 0
    .sgpr_count:     10
    .sgpr_spill_count: 0
    .symbol:         _Z17warp_store_kernelILj1024ELj4ELj64ELN6hipcub18WarpStoreAlgorithmE3EiEvPT3_S3_.kd
    .uniform_work_group_size: 1
    .uses_dynamic_stack: false
    .vgpr_count:     10
    .vgpr_spill_count: 0
    .wavefront_size: 64
  - .args:
      - .address_space:  global
        .offset:         0
        .size:           8
        .value_kind:     global_buffer
      - .address_space:  global
        .offset:         8
        .size:           8
        .value_kind:     global_buffer
    .group_segment_fixed_size: 0
    .kernarg_segment_align: 8
    .kernarg_segment_size: 16
    .language:       OpenCL C
    .language_version:
      - 2
      - 0
    .max_flat_workgroup_size: 1024
    .name:           _Z17warp_store_kernelILj1024ELj4ELj64ELN6hipcub18WarpStoreAlgorithmE2EiEvPT3_S3_
    .private_segment_fixed_size: 0
    .sgpr_count:     10
    .sgpr_spill_count: 0
    .symbol:         _Z17warp_store_kernelILj1024ELj4ELj64ELN6hipcub18WarpStoreAlgorithmE2EiEvPT3_S3_.kd
    .uniform_work_group_size: 1
    .uses_dynamic_stack: false
    .vgpr_count:     7
    .vgpr_spill_count: 0
    .wavefront_size: 64
  - .args:
      - .address_space:  global
        .offset:         0
        .size:           8
        .value_kind:     global_buffer
      - .address_space:  global
        .offset:         8
        .size:           8
        .value_kind:     global_buffer
    .group_segment_fixed_size: 0
    .kernarg_segment_align: 8
    .kernarg_segment_size: 16
    .language:       OpenCL C
    .language_version:
      - 2
      - 0
    .max_flat_workgroup_size: 1024
    .name:           _Z17warp_store_kernelILj1024ELj4ELj64ELN6hipcub18WarpStoreAlgorithmE1EiEvPT3_S3_
    .private_segment_fixed_size: 0
    .sgpr_count:     10
    .sgpr_spill_count: 0
    .symbol:         _Z17warp_store_kernelILj1024ELj4ELj64ELN6hipcub18WarpStoreAlgorithmE1EiEvPT3_S3_.kd
    .uniform_work_group_size: 1
    .uses_dynamic_stack: false
    .vgpr_count:     8
    .vgpr_spill_count: 0
    .wavefront_size: 64
  - .args:
      - .address_space:  global
        .offset:         0
        .size:           8
        .value_kind:     global_buffer
      - .address_space:  global
        .offset:         8
        .size:           8
        .value_kind:     global_buffer
    .group_segment_fixed_size: 0
    .kernarg_segment_align: 8
    .kernarg_segment_size: 16
    .language:       OpenCL C
    .language_version:
      - 2
      - 0
    .max_flat_workgroup_size: 1024
    .name:           _Z17warp_store_kernelILj1024ELj4ELj64ELN6hipcub18WarpStoreAlgorithmE0EiEvPT3_S3_
    .private_segment_fixed_size: 0
    .sgpr_count:     10
    .sgpr_spill_count: 0
    .symbol:         _Z17warp_store_kernelILj1024ELj4ELj64ELN6hipcub18WarpStoreAlgorithmE0EiEvPT3_S3_.kd
    .uniform_work_group_size: 1
    .uses_dynamic_stack: false
    .vgpr_count:     7
    .vgpr_spill_count: 0
    .wavefront_size: 64
  - .args:
      - .address_space:  global
        .offset:         0
        .size:           8
        .value_kind:     global_buffer
      - .address_space:  global
        .offset:         8
        .size:           8
        .value_kind:     global_buffer
    .group_segment_fixed_size: 16384
    .kernarg_segment_align: 8
    .kernarg_segment_size: 16
    .language:       OpenCL C
    .language_version:
      - 2
      - 0
    .max_flat_workgroup_size: 1024
    .name:           _Z17warp_store_kernelILj1024ELj4ELj32ELN6hipcub18WarpStoreAlgorithmE3EiEvPT3_S3_
    .private_segment_fixed_size: 0
    .sgpr_count:     10
    .sgpr_spill_count: 0
    .symbol:         _Z17warp_store_kernelILj1024ELj4ELj32ELN6hipcub18WarpStoreAlgorithmE3EiEvPT3_S3_.kd
    .uniform_work_group_size: 1
    .uses_dynamic_stack: false
    .vgpr_count:     9
    .vgpr_spill_count: 0
    .wavefront_size: 64
  - .args:
      - .address_space:  global
        .offset:         0
        .size:           8
        .value_kind:     global_buffer
      - .address_space:  global
        .offset:         8
        .size:           8
        .value_kind:     global_buffer
    .group_segment_fixed_size: 0
    .kernarg_segment_align: 8
    .kernarg_segment_size: 16
    .language:       OpenCL C
    .language_version:
      - 2
      - 0
    .max_flat_workgroup_size: 1024
    .name:           _Z17warp_store_kernelILj1024ELj4ELj32ELN6hipcub18WarpStoreAlgorithmE2EiEvPT3_S3_
    .private_segment_fixed_size: 0
    .sgpr_count:     10
    .sgpr_spill_count: 0
    .symbol:         _Z17warp_store_kernelILj1024ELj4ELj32ELN6hipcub18WarpStoreAlgorithmE2EiEvPT3_S3_.kd
    .uniform_work_group_size: 1
    .uses_dynamic_stack: false
    .vgpr_count:     7
    .vgpr_spill_count: 0
    .wavefront_size: 64
  - .args:
      - .address_space:  global
        .offset:         0
        .size:           8
        .value_kind:     global_buffer
      - .address_space:  global
        .offset:         8
        .size:           8
        .value_kind:     global_buffer
    .group_segment_fixed_size: 0
    .kernarg_segment_align: 8
    .kernarg_segment_size: 16
    .language:       OpenCL C
    .language_version:
      - 2
      - 0
    .max_flat_workgroup_size: 1024
    .name:           _Z17warp_store_kernelILj1024ELj4ELj32ELN6hipcub18WarpStoreAlgorithmE1EiEvPT3_S3_
    .private_segment_fixed_size: 0
    .sgpr_count:     10
    .sgpr_spill_count: 0
    .symbol:         _Z17warp_store_kernelILj1024ELj4ELj32ELN6hipcub18WarpStoreAlgorithmE1EiEvPT3_S3_.kd
    .uniform_work_group_size: 1
    .uses_dynamic_stack: false
    .vgpr_count:     7
    .vgpr_spill_count: 0
    .wavefront_size: 64
  - .args:
      - .address_space:  global
        .offset:         0
        .size:           8
        .value_kind:     global_buffer
      - .address_space:  global
        .offset:         8
        .size:           8
        .value_kind:     global_buffer
    .group_segment_fixed_size: 0
    .kernarg_segment_align: 8
    .kernarg_segment_size: 16
    .language:       OpenCL C
    .language_version:
      - 2
      - 0
    .max_flat_workgroup_size: 1024
    .name:           _Z17warp_store_kernelILj1024ELj4ELj32ELN6hipcub18WarpStoreAlgorithmE0EiEvPT3_S3_
    .private_segment_fixed_size: 0
    .sgpr_count:     10
    .sgpr_spill_count: 0
    .symbol:         _Z17warp_store_kernelILj1024ELj4ELj32ELN6hipcub18WarpStoreAlgorithmE0EiEvPT3_S3_.kd
    .uniform_work_group_size: 1
    .uses_dynamic_stack: false
    .vgpr_count:     7
    .vgpr_spill_count: 0
    .wavefront_size: 64
  - .args:
      - .address_space:  global
        .offset:         0
        .size:           8
        .value_kind:     global_buffer
      - .address_space:  global
        .offset:         8
        .size:           8
        .value_kind:     global_buffer
    .group_segment_fixed_size: 16384
    .kernarg_segment_align: 8
    .kernarg_segment_size: 16
    .language:       OpenCL C
    .language_version:
      - 2
      - 0
    .max_flat_workgroup_size: 1024
    .name:           _Z17warp_store_kernelILj1024ELj4ELj16ELN6hipcub18WarpStoreAlgorithmE3EiEvPT3_S3_
    .private_segment_fixed_size: 0
    .sgpr_count:     10
    .sgpr_spill_count: 0
    .symbol:         _Z17warp_store_kernelILj1024ELj4ELj16ELN6hipcub18WarpStoreAlgorithmE3EiEvPT3_S3_.kd
    .uniform_work_group_size: 1
    .uses_dynamic_stack: false
    .vgpr_count:     9
    .vgpr_spill_count: 0
    .wavefront_size: 64
  - .args:
      - .address_space:  global
        .offset:         0
        .size:           8
        .value_kind:     global_buffer
      - .address_space:  global
        .offset:         8
        .size:           8
        .value_kind:     global_buffer
    .group_segment_fixed_size: 0
    .kernarg_segment_align: 8
    .kernarg_segment_size: 16
    .language:       OpenCL C
    .language_version:
      - 2
      - 0
    .max_flat_workgroup_size: 1024
    .name:           _Z17warp_store_kernelILj1024ELj4ELj16ELN6hipcub18WarpStoreAlgorithmE2EiEvPT3_S3_
    .private_segment_fixed_size: 0
    .sgpr_count:     10
    .sgpr_spill_count: 0
    .symbol:         _Z17warp_store_kernelILj1024ELj4ELj16ELN6hipcub18WarpStoreAlgorithmE2EiEvPT3_S3_.kd
    .uniform_work_group_size: 1
    .uses_dynamic_stack: false
    .vgpr_count:     7
    .vgpr_spill_count: 0
    .wavefront_size: 64
  - .args:
      - .address_space:  global
        .offset:         0
        .size:           8
        .value_kind:     global_buffer
      - .address_space:  global
        .offset:         8
        .size:           8
        .value_kind:     global_buffer
    .group_segment_fixed_size: 0
    .kernarg_segment_align: 8
    .kernarg_segment_size: 16
    .language:       OpenCL C
    .language_version:
      - 2
      - 0
    .max_flat_workgroup_size: 1024
    .name:           _Z17warp_store_kernelILj1024ELj4ELj16ELN6hipcub18WarpStoreAlgorithmE1EiEvPT3_S3_
    .private_segment_fixed_size: 0
    .sgpr_count:     10
    .sgpr_spill_count: 0
    .symbol:         _Z17warp_store_kernelILj1024ELj4ELj16ELN6hipcub18WarpStoreAlgorithmE1EiEvPT3_S3_.kd
    .uniform_work_group_size: 1
    .uses_dynamic_stack: false
    .vgpr_count:     7
    .vgpr_spill_count: 0
    .wavefront_size: 64
  - .args:
      - .address_space:  global
        .offset:         0
        .size:           8
        .value_kind:     global_buffer
      - .address_space:  global
        .offset:         8
        .size:           8
        .value_kind:     global_buffer
    .group_segment_fixed_size: 0
    .kernarg_segment_align: 8
    .kernarg_segment_size: 16
    .language:       OpenCL C
    .language_version:
      - 2
      - 0
    .max_flat_workgroup_size: 1024
    .name:           _Z17warp_store_kernelILj1024ELj4ELj16ELN6hipcub18WarpStoreAlgorithmE0EiEvPT3_S3_
    .private_segment_fixed_size: 0
    .sgpr_count:     10
    .sgpr_spill_count: 0
    .symbol:         _Z17warp_store_kernelILj1024ELj4ELj16ELN6hipcub18WarpStoreAlgorithmE0EiEvPT3_S3_.kd
    .uniform_work_group_size: 1
    .uses_dynamic_stack: false
    .vgpr_count:     7
    .vgpr_spill_count: 0
    .wavefront_size: 64
  - .args:
      - .address_space:  global
        .offset:         0
        .size:           8
        .value_kind:     global_buffer
      - .address_space:  global
        .offset:         8
        .size:           8
        .value_kind:     global_buffer
    .group_segment_fixed_size: 16384
    .kernarg_segment_align: 8
    .kernarg_segment_size: 16
    .language:       OpenCL C
    .language_version:
      - 2
      - 0
    .max_flat_workgroup_size: 1024
    .name:           _Z17warp_store_kernelILj1024ELj4ELj1ELN6hipcub18WarpStoreAlgorithmE3EiEvPT3_S3_
    .private_segment_fixed_size: 0
    .sgpr_count:     10
    .sgpr_spill_count: 0
    .symbol:         _Z17warp_store_kernelILj1024ELj4ELj1ELN6hipcub18WarpStoreAlgorithmE3EiEvPT3_S3_.kd
    .uniform_work_group_size: 1
    .uses_dynamic_stack: false
    .vgpr_count:     5
    .vgpr_spill_count: 0
    .wavefront_size: 64
  - .args:
      - .address_space:  global
        .offset:         0
        .size:           8
        .value_kind:     global_buffer
      - .address_space:  global
        .offset:         8
        .size:           8
        .value_kind:     global_buffer
    .group_segment_fixed_size: 0
    .kernarg_segment_align: 8
    .kernarg_segment_size: 16
    .language:       OpenCL C
    .language_version:
      - 2
      - 0
    .max_flat_workgroup_size: 1024
    .name:           _Z17warp_store_kernelILj1024ELj4ELj1ELN6hipcub18WarpStoreAlgorithmE2EiEvPT3_S3_
    .private_segment_fixed_size: 0
    .sgpr_count:     10
    .sgpr_spill_count: 0
    .symbol:         _Z17warp_store_kernelILj1024ELj4ELj1ELN6hipcub18WarpStoreAlgorithmE2EiEvPT3_S3_.kd
    .uniform_work_group_size: 1
    .uses_dynamic_stack: false
    .vgpr_count:     5
    .vgpr_spill_count: 0
    .wavefront_size: 64
  - .args:
      - .address_space:  global
        .offset:         0
        .size:           8
        .value_kind:     global_buffer
      - .address_space:  global
        .offset:         8
        .size:           8
        .value_kind:     global_buffer
    .group_segment_fixed_size: 0
    .kernarg_segment_align: 8
    .kernarg_segment_size: 16
    .language:       OpenCL C
    .language_version:
      - 2
      - 0
    .max_flat_workgroup_size: 1024
    .name:           _Z17warp_store_kernelILj1024ELj4ELj1ELN6hipcub18WarpStoreAlgorithmE1EiEvPT3_S3_
    .private_segment_fixed_size: 0
    .sgpr_count:     10
    .sgpr_spill_count: 0
    .symbol:         _Z17warp_store_kernelILj1024ELj4ELj1ELN6hipcub18WarpStoreAlgorithmE1EiEvPT3_S3_.kd
    .uniform_work_group_size: 1
    .uses_dynamic_stack: false
    .vgpr_count:     5
    .vgpr_spill_count: 0
    .wavefront_size: 64
  - .args:
      - .address_space:  global
        .offset:         0
        .size:           8
        .value_kind:     global_buffer
      - .address_space:  global
        .offset:         8
        .size:           8
        .value_kind:     global_buffer
    .group_segment_fixed_size: 0
    .kernarg_segment_align: 8
    .kernarg_segment_size: 16
    .language:       OpenCL C
    .language_version:
      - 2
      - 0
    .max_flat_workgroup_size: 1024
    .name:           _Z17warp_store_kernelILj1024ELj4ELj1ELN6hipcub18WarpStoreAlgorithmE0EiEvPT3_S3_
    .private_segment_fixed_size: 0
    .sgpr_count:     10
    .sgpr_spill_count: 0
    .symbol:         _Z17warp_store_kernelILj1024ELj4ELj1ELN6hipcub18WarpStoreAlgorithmE0EiEvPT3_S3_.kd
    .uniform_work_group_size: 1
    .uses_dynamic_stack: false
    .vgpr_count:     5
    .vgpr_spill_count: 0
    .wavefront_size: 64
  - .args:
      - .address_space:  global
        .offset:         0
        .size:           8
        .value_kind:     global_buffer
      - .address_space:  global
        .offset:         8
        .size:           8
        .value_kind:     global_buffer
      - .offset:         16
        .size:           4
        .value_kind:     by_value
    .group_segment_fixed_size: 16384
    .kernarg_segment_align: 8
    .kernarg_segment_size: 20
    .language:       OpenCL C
    .language_version:
      - 2
      - 0
    .max_flat_workgroup_size: 1024
    .name:           _Z25warp_store_guarded_kernelILj1024ELj4ELj64ELN6hipcub18WarpStoreAlgorithmE3EiEvPT3_S3_i
    .private_segment_fixed_size: 0
    .sgpr_count:     16
    .sgpr_spill_count: 0
    .symbol:         _Z25warp_store_guarded_kernelILj1024ELj4ELj64ELN6hipcub18WarpStoreAlgorithmE3EiEvPT3_S3_i.kd
    .uniform_work_group_size: 1
    .uses_dynamic_stack: false
    .vgpr_count:     12
    .vgpr_spill_count: 0
    .wavefront_size: 64
  - .args:
      - .address_space:  global
        .offset:         0
        .size:           8
        .value_kind:     global_buffer
      - .address_space:  global
        .offset:         8
        .size:           8
        .value_kind:     global_buffer
      - .offset:         16
        .size:           4
        .value_kind:     by_value
    .group_segment_fixed_size: 0
    .kernarg_segment_align: 8
    .kernarg_segment_size: 20
    .language:       OpenCL C
    .language_version:
      - 2
      - 0
    .max_flat_workgroup_size: 1024
    .name:           _Z25warp_store_guarded_kernelILj1024ELj4ELj64ELN6hipcub18WarpStoreAlgorithmE2EiEvPT3_S3_i
    .private_segment_fixed_size: 0
    .sgpr_count:     11
    .sgpr_spill_count: 0
    .symbol:         _Z25warp_store_guarded_kernelILj1024ELj4ELj64ELN6hipcub18WarpStoreAlgorithmE2EiEvPT3_S3_i.kd
    .uniform_work_group_size: 1
    .uses_dynamic_stack: false
    .vgpr_count:     8
    .vgpr_spill_count: 0
    .wavefront_size: 64
  - .args:
      - .address_space:  global
        .offset:         0
        .size:           8
        .value_kind:     global_buffer
      - .address_space:  global
        .offset:         8
        .size:           8
        .value_kind:     global_buffer
      - .offset:         16
        .size:           4
        .value_kind:     by_value
    .group_segment_fixed_size: 0
    .kernarg_segment_align: 8
    .kernarg_segment_size: 20
    .language:       OpenCL C
    .language_version:
      - 2
      - 0
    .max_flat_workgroup_size: 1024
    .name:           _Z25warp_store_guarded_kernelILj1024ELj4ELj64ELN6hipcub18WarpStoreAlgorithmE1EiEvPT3_S3_i
    .private_segment_fixed_size: 0
    .sgpr_count:     11
    .sgpr_spill_count: 0
    .symbol:         _Z25warp_store_guarded_kernelILj1024ELj4ELj64ELN6hipcub18WarpStoreAlgorithmE1EiEvPT3_S3_i.kd
    .uniform_work_group_size: 1
    .uses_dynamic_stack: false
    .vgpr_count:     9
    .vgpr_spill_count: 0
    .wavefront_size: 64
  - .args:
      - .address_space:  global
        .offset:         0
        .size:           8
        .value_kind:     global_buffer
      - .address_space:  global
        .offset:         8
        .size:           8
        .value_kind:     global_buffer
      - .offset:         16
        .size:           4
        .value_kind:     by_value
    .group_segment_fixed_size: 0
    .kernarg_segment_align: 8
    .kernarg_segment_size: 20
    .language:       OpenCL C
    .language_version:
      - 2
      - 0
    .max_flat_workgroup_size: 1024
    .name:           _Z25warp_store_guarded_kernelILj1024ELj4ELj64ELN6hipcub18WarpStoreAlgorithmE0EiEvPT3_S3_i
    .private_segment_fixed_size: 0
    .sgpr_count:     11
    .sgpr_spill_count: 0
    .symbol:         _Z25warp_store_guarded_kernelILj1024ELj4ELj64ELN6hipcub18WarpStoreAlgorithmE0EiEvPT3_S3_i.kd
    .uniform_work_group_size: 1
    .uses_dynamic_stack: false
    .vgpr_count:     8
    .vgpr_spill_count: 0
    .wavefront_size: 64
  - .args:
      - .address_space:  global
        .offset:         0
        .size:           8
        .value_kind:     global_buffer
      - .address_space:  global
        .offset:         8
        .size:           8
        .value_kind:     global_buffer
      - .offset:         16
        .size:           4
        .value_kind:     by_value
    .group_segment_fixed_size: 16384
    .kernarg_segment_align: 8
    .kernarg_segment_size: 20
    .language:       OpenCL C
    .language_version:
      - 2
      - 0
    .max_flat_workgroup_size: 1024
    .name:           _Z25warp_store_guarded_kernelILj1024ELj4ELj32ELN6hipcub18WarpStoreAlgorithmE3EiEvPT3_S3_i
    .private_segment_fixed_size: 0
    .sgpr_count:     16
    .sgpr_spill_count: 0
    .symbol:         _Z25warp_store_guarded_kernelILj1024ELj4ELj32ELN6hipcub18WarpStoreAlgorithmE3EiEvPT3_S3_i.kd
    .uniform_work_group_size: 1
    .uses_dynamic_stack: false
    .vgpr_count:     10
    .vgpr_spill_count: 0
    .wavefront_size: 64
  - .args:
      - .address_space:  global
        .offset:         0
        .size:           8
        .value_kind:     global_buffer
      - .address_space:  global
        .offset:         8
        .size:           8
        .value_kind:     global_buffer
      - .offset:         16
        .size:           4
        .value_kind:     by_value
    .group_segment_fixed_size: 0
    .kernarg_segment_align: 8
    .kernarg_segment_size: 20
    .language:       OpenCL C
    .language_version:
      - 2
      - 0
    .max_flat_workgroup_size: 1024
    .name:           _Z25warp_store_guarded_kernelILj1024ELj4ELj32ELN6hipcub18WarpStoreAlgorithmE2EiEvPT3_S3_i
    .private_segment_fixed_size: 0
    .sgpr_count:     11
    .sgpr_spill_count: 0
    .symbol:         _Z25warp_store_guarded_kernelILj1024ELj4ELj32ELN6hipcub18WarpStoreAlgorithmE2EiEvPT3_S3_i.kd
    .uniform_work_group_size: 1
    .uses_dynamic_stack: false
    .vgpr_count:     8
    .vgpr_spill_count: 0
    .wavefront_size: 64
  - .args:
      - .address_space:  global
        .offset:         0
        .size:           8
        .value_kind:     global_buffer
      - .address_space:  global
        .offset:         8
        .size:           8
        .value_kind:     global_buffer
      - .offset:         16
        .size:           4
        .value_kind:     by_value
    .group_segment_fixed_size: 0
    .kernarg_segment_align: 8
    .kernarg_segment_size: 20
    .language:       OpenCL C
    .language_version:
      - 2
      - 0
    .max_flat_workgroup_size: 1024
    .name:           _Z25warp_store_guarded_kernelILj1024ELj4ELj32ELN6hipcub18WarpStoreAlgorithmE1EiEvPT3_S3_i
    .private_segment_fixed_size: 0
    .sgpr_count:     11
    .sgpr_spill_count: 0
    .symbol:         _Z25warp_store_guarded_kernelILj1024ELj4ELj32ELN6hipcub18WarpStoreAlgorithmE1EiEvPT3_S3_i.kd
    .uniform_work_group_size: 1
    .uses_dynamic_stack: false
    .vgpr_count:     8
    .vgpr_spill_count: 0
    .wavefront_size: 64
  - .args:
      - .address_space:  global
        .offset:         0
        .size:           8
        .value_kind:     global_buffer
      - .address_space:  global
        .offset:         8
        .size:           8
        .value_kind:     global_buffer
      - .offset:         16
        .size:           4
        .value_kind:     by_value
    .group_segment_fixed_size: 0
    .kernarg_segment_align: 8
    .kernarg_segment_size: 20
    .language:       OpenCL C
    .language_version:
      - 2
      - 0
    .max_flat_workgroup_size: 1024
    .name:           _Z25warp_store_guarded_kernelILj1024ELj4ELj32ELN6hipcub18WarpStoreAlgorithmE0EiEvPT3_S3_i
    .private_segment_fixed_size: 0
    .sgpr_count:     11
    .sgpr_spill_count: 0
    .symbol:         _Z25warp_store_guarded_kernelILj1024ELj4ELj32ELN6hipcub18WarpStoreAlgorithmE0EiEvPT3_S3_i.kd
    .uniform_work_group_size: 1
    .uses_dynamic_stack: false
    .vgpr_count:     8
    .vgpr_spill_count: 0
    .wavefront_size: 64
  - .args:
      - .address_space:  global
        .offset:         0
        .size:           8
        .value_kind:     global_buffer
      - .address_space:  global
        .offset:         8
        .size:           8
        .value_kind:     global_buffer
      - .offset:         16
        .size:           4
        .value_kind:     by_value
    .group_segment_fixed_size: 16384
    .kernarg_segment_align: 8
    .kernarg_segment_size: 20
    .language:       OpenCL C
    .language_version:
      - 2
      - 0
    .max_flat_workgroup_size: 1024
    .name:           _Z25warp_store_guarded_kernelILj1024ELj4ELj16ELN6hipcub18WarpStoreAlgorithmE3EiEvPT3_S3_i
    .private_segment_fixed_size: 0
    .sgpr_count:     16
    .sgpr_spill_count: 0
    .symbol:         _Z25warp_store_guarded_kernelILj1024ELj4ELj16ELN6hipcub18WarpStoreAlgorithmE3EiEvPT3_S3_i.kd
    .uniform_work_group_size: 1
    .uses_dynamic_stack: false
    .vgpr_count:     10
    .vgpr_spill_count: 0
    .wavefront_size: 64
  - .args:
      - .address_space:  global
        .offset:         0
        .size:           8
        .value_kind:     global_buffer
      - .address_space:  global
        .offset:         8
        .size:           8
        .value_kind:     global_buffer
      - .offset:         16
        .size:           4
        .value_kind:     by_value
    .group_segment_fixed_size: 0
    .kernarg_segment_align: 8
    .kernarg_segment_size: 20
    .language:       OpenCL C
    .language_version:
      - 2
      - 0
    .max_flat_workgroup_size: 1024
    .name:           _Z25warp_store_guarded_kernelILj1024ELj4ELj16ELN6hipcub18WarpStoreAlgorithmE2EiEvPT3_S3_i
    .private_segment_fixed_size: 0
    .sgpr_count:     11
    .sgpr_spill_count: 0
    .symbol:         _Z25warp_store_guarded_kernelILj1024ELj4ELj16ELN6hipcub18WarpStoreAlgorithmE2EiEvPT3_S3_i.kd
    .uniform_work_group_size: 1
    .uses_dynamic_stack: false
    .vgpr_count:     8
    .vgpr_spill_count: 0
    .wavefront_size: 64
  - .args:
      - .address_space:  global
        .offset:         0
        .size:           8
        .value_kind:     global_buffer
      - .address_space:  global
        .offset:         8
        .size:           8
        .value_kind:     global_buffer
      - .offset:         16
        .size:           4
        .value_kind:     by_value
    .group_segment_fixed_size: 0
    .kernarg_segment_align: 8
    .kernarg_segment_size: 20
    .language:       OpenCL C
    .language_version:
      - 2
      - 0
    .max_flat_workgroup_size: 1024
    .name:           _Z25warp_store_guarded_kernelILj1024ELj4ELj16ELN6hipcub18WarpStoreAlgorithmE1EiEvPT3_S3_i
    .private_segment_fixed_size: 0
    .sgpr_count:     11
    .sgpr_spill_count: 0
    .symbol:         _Z25warp_store_guarded_kernelILj1024ELj4ELj16ELN6hipcub18WarpStoreAlgorithmE1EiEvPT3_S3_i.kd
    .uniform_work_group_size: 1
    .uses_dynamic_stack: false
    .vgpr_count:     8
    .vgpr_spill_count: 0
    .wavefront_size: 64
  - .args:
      - .address_space:  global
        .offset:         0
        .size:           8
        .value_kind:     global_buffer
      - .address_space:  global
        .offset:         8
        .size:           8
        .value_kind:     global_buffer
      - .offset:         16
        .size:           4
        .value_kind:     by_value
    .group_segment_fixed_size: 0
    .kernarg_segment_align: 8
    .kernarg_segment_size: 20
    .language:       OpenCL C
    .language_version:
      - 2
      - 0
    .max_flat_workgroup_size: 1024
    .name:           _Z25warp_store_guarded_kernelILj1024ELj4ELj16ELN6hipcub18WarpStoreAlgorithmE0EiEvPT3_S3_i
    .private_segment_fixed_size: 0
    .sgpr_count:     11
    .sgpr_spill_count: 0
    .symbol:         _Z25warp_store_guarded_kernelILj1024ELj4ELj16ELN6hipcub18WarpStoreAlgorithmE0EiEvPT3_S3_i.kd
    .uniform_work_group_size: 1
    .uses_dynamic_stack: false
    .vgpr_count:     8
    .vgpr_spill_count: 0
    .wavefront_size: 64
  - .args:
      - .address_space:  global
        .offset:         0
        .size:           8
        .value_kind:     global_buffer
      - .address_space:  global
        .offset:         8
        .size:           8
        .value_kind:     global_buffer
      - .offset:         16
        .size:           4
        .value_kind:     by_value
    .group_segment_fixed_size: 16384
    .kernarg_segment_align: 8
    .kernarg_segment_size: 20
    .language:       OpenCL C
    .language_version:
      - 2
      - 0
    .max_flat_workgroup_size: 1024
    .name:           _Z25warp_store_guarded_kernelILj1024ELj4ELj1ELN6hipcub18WarpStoreAlgorithmE3EiEvPT3_S3_i
    .private_segment_fixed_size: 0
    .sgpr_count:     16
    .sgpr_spill_count: 0
    .symbol:         _Z25warp_store_guarded_kernelILj1024ELj4ELj1ELN6hipcub18WarpStoreAlgorithmE3EiEvPT3_S3_i.kd
    .uniform_work_group_size: 1
    .uses_dynamic_stack: false
    .vgpr_count:     9
    .vgpr_spill_count: 0
    .wavefront_size: 64
  - .args:
      - .address_space:  global
        .offset:         0
        .size:           8
        .value_kind:     global_buffer
      - .address_space:  global
        .offset:         8
        .size:           8
        .value_kind:     global_buffer
      - .offset:         16
        .size:           4
        .value_kind:     by_value
    .group_segment_fixed_size: 0
    .kernarg_segment_align: 8
    .kernarg_segment_size: 20
    .language:       OpenCL C
    .language_version:
      - 2
      - 0
    .max_flat_workgroup_size: 1024
    .name:           _Z25warp_store_guarded_kernelILj1024ELj4ELj1ELN6hipcub18WarpStoreAlgorithmE2EiEvPT3_S3_i
    .private_segment_fixed_size: 0
    .sgpr_count:     11
    .sgpr_spill_count: 0
    .symbol:         _Z25warp_store_guarded_kernelILj1024ELj4ELj1ELN6hipcub18WarpStoreAlgorithmE2EiEvPT3_S3_i.kd
    .uniform_work_group_size: 1
    .uses_dynamic_stack: false
    .vgpr_count:     7
    .vgpr_spill_count: 0
    .wavefront_size: 64
  - .args:
      - .address_space:  global
        .offset:         0
        .size:           8
        .value_kind:     global_buffer
      - .address_space:  global
        .offset:         8
        .size:           8
        .value_kind:     global_buffer
      - .offset:         16
        .size:           4
        .value_kind:     by_value
    .group_segment_fixed_size: 0
    .kernarg_segment_align: 8
    .kernarg_segment_size: 20
    .language:       OpenCL C
    .language_version:
      - 2
      - 0
    .max_flat_workgroup_size: 1024
    .name:           _Z25warp_store_guarded_kernelILj1024ELj4ELj1ELN6hipcub18WarpStoreAlgorithmE1EiEvPT3_S3_i
    .private_segment_fixed_size: 0
    .sgpr_count:     11
    .sgpr_spill_count: 0
    .symbol:         _Z25warp_store_guarded_kernelILj1024ELj4ELj1ELN6hipcub18WarpStoreAlgorithmE1EiEvPT3_S3_i.kd
    .uniform_work_group_size: 1
    .uses_dynamic_stack: false
    .vgpr_count:     7
    .vgpr_spill_count: 0
    .wavefront_size: 64
  - .args:
      - .address_space:  global
        .offset:         0
        .size:           8
        .value_kind:     global_buffer
      - .address_space:  global
        .offset:         8
        .size:           8
        .value_kind:     global_buffer
      - .offset:         16
        .size:           4
        .value_kind:     by_value
    .group_segment_fixed_size: 0
    .kernarg_segment_align: 8
    .kernarg_segment_size: 20
    .language:       OpenCL C
    .language_version:
      - 2
      - 0
    .max_flat_workgroup_size: 1024
    .name:           _Z25warp_store_guarded_kernelILj1024ELj4ELj1ELN6hipcub18WarpStoreAlgorithmE0EiEvPT3_S3_i
    .private_segment_fixed_size: 0
    .sgpr_count:     11
    .sgpr_spill_count: 0
    .symbol:         _Z25warp_store_guarded_kernelILj1024ELj4ELj1ELN6hipcub18WarpStoreAlgorithmE0EiEvPT3_S3_i.kd
    .uniform_work_group_size: 1
    .uses_dynamic_stack: false
    .vgpr_count:     7
    .vgpr_spill_count: 0
    .wavefront_size: 64
amdhsa.target:   amdgcn-amd-amdhsa--gfx906
amdhsa.version:
  - 1
  - 2
...

	.end_amdgpu_metadata
